;; amdgpu-corpus repo=ROCm/rocFFT kind=compiled arch=gfx1201 opt=O3
	.text
	.amdgcn_target "amdgcn-amd-amdhsa--gfx1201"
	.amdhsa_code_object_version 6
	.protected	fft_rtc_fwd_len1144_factors_13_11_8_wgs_104_tpt_104_dp_ip_CI_unitstride_sbrr_R2C_dirReg ; -- Begin function fft_rtc_fwd_len1144_factors_13_11_8_wgs_104_tpt_104_dp_ip_CI_unitstride_sbrr_R2C_dirReg
	.globl	fft_rtc_fwd_len1144_factors_13_11_8_wgs_104_tpt_104_dp_ip_CI_unitstride_sbrr_R2C_dirReg
	.p2align	8
	.type	fft_rtc_fwd_len1144_factors_13_11_8_wgs_104_tpt_104_dp_ip_CI_unitstride_sbrr_R2C_dirReg,@function
fft_rtc_fwd_len1144_factors_13_11_8_wgs_104_tpt_104_dp_ip_CI_unitstride_sbrr_R2C_dirReg: ; @fft_rtc_fwd_len1144_factors_13_11_8_wgs_104_tpt_104_dp_ip_CI_unitstride_sbrr_R2C_dirReg
; %bb.0:
	s_clause 0x2
	s_load_b128 s[4:7], s[0:1], 0x0
	s_load_b64 s[8:9], s[0:1], 0x50
	s_load_b64 s[10:11], s[0:1], 0x18
	v_mul_u32_u24_e32 v1, 0x277, v0
	v_mov_b32_e32 v3, 0
	s_delay_alu instid0(VALU_DEP_2) | instskip(NEXT) | instid1(VALU_DEP_1)
	v_lshrrev_b32_e32 v1, 16, v1
	v_add_nc_u32_e32 v5, ttmp9, v1
	v_mov_b32_e32 v1, 0
	v_mov_b32_e32 v2, 0
	;; [unrolled: 1-line block ×3, first 2 shown]
	s_wait_kmcnt 0x0
	v_cmp_lt_u64_e64 s2, s[6:7], 2
	s_delay_alu instid0(VALU_DEP_1)
	s_and_b32 vcc_lo, exec_lo, s2
	s_cbranch_vccnz .LBB0_8
; %bb.1:
	s_load_b64 s[2:3], s[0:1], 0x10
	v_mov_b32_e32 v1, 0
	v_mov_b32_e32 v2, 0
	s_add_nc_u64 s[12:13], s[10:11], 8
	s_mov_b64 s[14:15], 1
	s_wait_kmcnt 0x0
	s_add_nc_u64 s[16:17], s[2:3], 8
	s_mov_b32 s3, 0
.LBB0_2:                                ; =>This Inner Loop Header: Depth=1
	s_load_b64 s[18:19], s[16:17], 0x0
                                        ; implicit-def: $vgpr7_vgpr8
	s_mov_b32 s2, exec_lo
	s_wait_kmcnt 0x0
	v_or_b32_e32 v4, s19, v6
	s_delay_alu instid0(VALU_DEP_1)
	v_cmpx_ne_u64_e32 0, v[3:4]
	s_wait_alu 0xfffe
	s_xor_b32 s20, exec_lo, s2
	s_cbranch_execz .LBB0_4
; %bb.3:                                ;   in Loop: Header=BB0_2 Depth=1
	s_cvt_f32_u32 s2, s18
	s_cvt_f32_u32 s21, s19
	s_sub_nc_u64 s[24:25], 0, s[18:19]
	s_wait_alu 0xfffe
	s_delay_alu instid0(SALU_CYCLE_1) | instskip(SKIP_1) | instid1(SALU_CYCLE_2)
	s_fmamk_f32 s2, s21, 0x4f800000, s2
	s_wait_alu 0xfffe
	v_s_rcp_f32 s2, s2
	s_delay_alu instid0(TRANS32_DEP_1) | instskip(SKIP_1) | instid1(SALU_CYCLE_2)
	s_mul_f32 s2, s2, 0x5f7ffffc
	s_wait_alu 0xfffe
	s_mul_f32 s21, s2, 0x2f800000
	s_wait_alu 0xfffe
	s_delay_alu instid0(SALU_CYCLE_2) | instskip(SKIP_1) | instid1(SALU_CYCLE_2)
	s_trunc_f32 s21, s21
	s_wait_alu 0xfffe
	s_fmamk_f32 s2, s21, 0xcf800000, s2
	s_cvt_u32_f32 s23, s21
	s_wait_alu 0xfffe
	s_delay_alu instid0(SALU_CYCLE_1) | instskip(SKIP_1) | instid1(SALU_CYCLE_2)
	s_cvt_u32_f32 s22, s2
	s_wait_alu 0xfffe
	s_mul_u64 s[26:27], s[24:25], s[22:23]
	s_wait_alu 0xfffe
	s_mul_hi_u32 s29, s22, s27
	s_mul_i32 s28, s22, s27
	s_mul_hi_u32 s2, s22, s26
	s_mul_i32 s30, s23, s26
	s_wait_alu 0xfffe
	s_add_nc_u64 s[28:29], s[2:3], s[28:29]
	s_mul_hi_u32 s21, s23, s26
	s_mul_hi_u32 s31, s23, s27
	s_add_co_u32 s2, s28, s30
	s_wait_alu 0xfffe
	s_add_co_ci_u32 s2, s29, s21
	s_mul_i32 s26, s23, s27
	s_add_co_ci_u32 s27, s31, 0
	s_wait_alu 0xfffe
	s_add_nc_u64 s[26:27], s[2:3], s[26:27]
	s_wait_alu 0xfffe
	v_add_co_u32 v4, s2, s22, s26
	s_delay_alu instid0(VALU_DEP_1) | instskip(SKIP_1) | instid1(VALU_DEP_1)
	s_cmp_lg_u32 s2, 0
	s_add_co_ci_u32 s23, s23, s27
	v_readfirstlane_b32 s22, v4
	s_wait_alu 0xfffe
	s_delay_alu instid0(VALU_DEP_1)
	s_mul_u64 s[24:25], s[24:25], s[22:23]
	s_wait_alu 0xfffe
	s_mul_hi_u32 s27, s22, s25
	s_mul_i32 s26, s22, s25
	s_mul_hi_u32 s2, s22, s24
	s_mul_i32 s28, s23, s24
	s_wait_alu 0xfffe
	s_add_nc_u64 s[26:27], s[2:3], s[26:27]
	s_mul_hi_u32 s21, s23, s24
	s_mul_hi_u32 s22, s23, s25
	s_wait_alu 0xfffe
	s_add_co_u32 s2, s26, s28
	s_add_co_ci_u32 s2, s27, s21
	s_mul_i32 s24, s23, s25
	s_add_co_ci_u32 s25, s22, 0
	s_wait_alu 0xfffe
	s_add_nc_u64 s[24:25], s[2:3], s[24:25]
	s_wait_alu 0xfffe
	v_add_co_u32 v4, s2, v4, s24
	s_delay_alu instid0(VALU_DEP_1) | instskip(SKIP_1) | instid1(VALU_DEP_1)
	s_cmp_lg_u32 s2, 0
	s_add_co_ci_u32 s2, s23, s25
	v_mul_hi_u32 v13, v5, v4
	s_wait_alu 0xfffe
	v_mad_co_u64_u32 v[7:8], null, v5, s2, 0
	v_mad_co_u64_u32 v[9:10], null, v6, v4, 0
	;; [unrolled: 1-line block ×3, first 2 shown]
	s_delay_alu instid0(VALU_DEP_3) | instskip(SKIP_1) | instid1(VALU_DEP_4)
	v_add_co_u32 v4, vcc_lo, v13, v7
	s_wait_alu 0xfffd
	v_add_co_ci_u32_e32 v7, vcc_lo, 0, v8, vcc_lo
	s_delay_alu instid0(VALU_DEP_2) | instskip(SKIP_1) | instid1(VALU_DEP_2)
	v_add_co_u32 v4, vcc_lo, v4, v9
	s_wait_alu 0xfffd
	v_add_co_ci_u32_e32 v4, vcc_lo, v7, v10, vcc_lo
	s_wait_alu 0xfffd
	v_add_co_ci_u32_e32 v7, vcc_lo, 0, v12, vcc_lo
	s_delay_alu instid0(VALU_DEP_2) | instskip(SKIP_1) | instid1(VALU_DEP_2)
	v_add_co_u32 v4, vcc_lo, v4, v11
	s_wait_alu 0xfffd
	v_add_co_ci_u32_e32 v9, vcc_lo, 0, v7, vcc_lo
	s_delay_alu instid0(VALU_DEP_2) | instskip(SKIP_1) | instid1(VALU_DEP_3)
	v_mul_lo_u32 v10, s19, v4
	v_mad_co_u64_u32 v[7:8], null, s18, v4, 0
	v_mul_lo_u32 v11, s18, v9
	s_delay_alu instid0(VALU_DEP_2) | instskip(NEXT) | instid1(VALU_DEP_2)
	v_sub_co_u32 v7, vcc_lo, v5, v7
	v_add3_u32 v8, v8, v11, v10
	s_delay_alu instid0(VALU_DEP_1) | instskip(SKIP_1) | instid1(VALU_DEP_1)
	v_sub_nc_u32_e32 v10, v6, v8
	s_wait_alu 0xfffd
	v_subrev_co_ci_u32_e64 v10, s2, s19, v10, vcc_lo
	v_add_co_u32 v11, s2, v4, 2
	s_wait_alu 0xf1ff
	v_add_co_ci_u32_e64 v12, s2, 0, v9, s2
	v_sub_co_u32 v13, s2, v7, s18
	v_sub_co_ci_u32_e32 v8, vcc_lo, v6, v8, vcc_lo
	s_wait_alu 0xf1ff
	v_subrev_co_ci_u32_e64 v10, s2, 0, v10, s2
	s_delay_alu instid0(VALU_DEP_3) | instskip(NEXT) | instid1(VALU_DEP_3)
	v_cmp_le_u32_e32 vcc_lo, s18, v13
	v_cmp_eq_u32_e64 s2, s19, v8
	s_wait_alu 0xfffd
	v_cndmask_b32_e64 v13, 0, -1, vcc_lo
	v_cmp_le_u32_e32 vcc_lo, s19, v10
	s_wait_alu 0xfffd
	v_cndmask_b32_e64 v14, 0, -1, vcc_lo
	v_cmp_le_u32_e32 vcc_lo, s18, v7
	;; [unrolled: 3-line block ×3, first 2 shown]
	s_wait_alu 0xfffd
	v_cndmask_b32_e64 v15, 0, -1, vcc_lo
	v_cmp_eq_u32_e32 vcc_lo, s19, v10
	s_wait_alu 0xf1ff
	s_delay_alu instid0(VALU_DEP_2)
	v_cndmask_b32_e64 v7, v15, v7, s2
	s_wait_alu 0xfffd
	v_cndmask_b32_e32 v10, v14, v13, vcc_lo
	v_add_co_u32 v13, vcc_lo, v4, 1
	s_wait_alu 0xfffd
	v_add_co_ci_u32_e32 v14, vcc_lo, 0, v9, vcc_lo
	s_delay_alu instid0(VALU_DEP_3) | instskip(SKIP_2) | instid1(VALU_DEP_3)
	v_cmp_ne_u32_e32 vcc_lo, 0, v10
	s_wait_alu 0xfffd
	v_cndmask_b32_e32 v10, v13, v11, vcc_lo
	v_cndmask_b32_e32 v8, v14, v12, vcc_lo
	v_cmp_ne_u32_e32 vcc_lo, 0, v7
	s_wait_alu 0xfffd
	s_delay_alu instid0(VALU_DEP_2)
	v_dual_cndmask_b32 v7, v4, v10 :: v_dual_cndmask_b32 v8, v9, v8
.LBB0_4:                                ;   in Loop: Header=BB0_2 Depth=1
	s_wait_alu 0xfffe
	s_and_not1_saveexec_b32 s2, s20
	s_cbranch_execz .LBB0_6
; %bb.5:                                ;   in Loop: Header=BB0_2 Depth=1
	v_cvt_f32_u32_e32 v4, s18
	s_sub_co_i32 s20, 0, s18
	s_delay_alu instid0(VALU_DEP_1) | instskip(NEXT) | instid1(TRANS32_DEP_1)
	v_rcp_iflag_f32_e32 v4, v4
	v_mul_f32_e32 v4, 0x4f7ffffe, v4
	s_delay_alu instid0(VALU_DEP_1) | instskip(SKIP_1) | instid1(VALU_DEP_1)
	v_cvt_u32_f32_e32 v4, v4
	s_wait_alu 0xfffe
	v_mul_lo_u32 v7, s20, v4
	s_delay_alu instid0(VALU_DEP_1) | instskip(NEXT) | instid1(VALU_DEP_1)
	v_mul_hi_u32 v7, v4, v7
	v_add_nc_u32_e32 v4, v4, v7
	s_delay_alu instid0(VALU_DEP_1) | instskip(NEXT) | instid1(VALU_DEP_1)
	v_mul_hi_u32 v4, v5, v4
	v_mul_lo_u32 v7, v4, s18
	v_add_nc_u32_e32 v8, 1, v4
	s_delay_alu instid0(VALU_DEP_2) | instskip(NEXT) | instid1(VALU_DEP_1)
	v_sub_nc_u32_e32 v7, v5, v7
	v_subrev_nc_u32_e32 v9, s18, v7
	v_cmp_le_u32_e32 vcc_lo, s18, v7
	s_wait_alu 0xfffd
	s_delay_alu instid0(VALU_DEP_2) | instskip(NEXT) | instid1(VALU_DEP_1)
	v_dual_cndmask_b32 v7, v7, v9 :: v_dual_cndmask_b32 v4, v4, v8
	v_cmp_le_u32_e32 vcc_lo, s18, v7
	s_delay_alu instid0(VALU_DEP_2) | instskip(SKIP_1) | instid1(VALU_DEP_1)
	v_add_nc_u32_e32 v8, 1, v4
	s_wait_alu 0xfffd
	v_dual_cndmask_b32 v7, v4, v8 :: v_dual_mov_b32 v8, v3
.LBB0_6:                                ;   in Loop: Header=BB0_2 Depth=1
	s_wait_alu 0xfffe
	s_or_b32 exec_lo, exec_lo, s2
	s_load_b64 s[20:21], s[12:13], 0x0
	s_delay_alu instid0(VALU_DEP_1)
	v_mul_lo_u32 v4, v8, s18
	v_mul_lo_u32 v11, v7, s19
	v_mad_co_u64_u32 v[9:10], null, v7, s18, 0
	s_add_nc_u64 s[14:15], s[14:15], 1
	s_add_nc_u64 s[12:13], s[12:13], 8
	s_wait_alu 0xfffe
	v_cmp_ge_u64_e64 s2, s[14:15], s[6:7]
	s_add_nc_u64 s[16:17], s[16:17], 8
	s_delay_alu instid0(VALU_DEP_2) | instskip(NEXT) | instid1(VALU_DEP_3)
	v_add3_u32 v4, v10, v11, v4
	v_sub_co_u32 v5, vcc_lo, v5, v9
	s_wait_alu 0xfffd
	s_delay_alu instid0(VALU_DEP_2) | instskip(SKIP_3) | instid1(VALU_DEP_2)
	v_sub_co_ci_u32_e32 v4, vcc_lo, v6, v4, vcc_lo
	s_and_b32 vcc_lo, exec_lo, s2
	s_wait_kmcnt 0x0
	v_mul_lo_u32 v6, s21, v5
	v_mul_lo_u32 v4, s20, v4
	v_mad_co_u64_u32 v[1:2], null, s20, v5, v[1:2]
	s_delay_alu instid0(VALU_DEP_1)
	v_add3_u32 v2, v6, v2, v4
	s_wait_alu 0xfffe
	s_cbranch_vccnz .LBB0_9
; %bb.7:                                ;   in Loop: Header=BB0_2 Depth=1
	v_dual_mov_b32 v5, v7 :: v_dual_mov_b32 v6, v8
	s_branch .LBB0_2
.LBB0_8:
	v_dual_mov_b32 v8, v6 :: v_dual_mov_b32 v7, v5
.LBB0_9:
	s_lshl_b64 s[2:3], s[6:7], 3
	v_mul_hi_u32 v3, 0x2762763, v0
	s_wait_alu 0xfffe
	s_add_nc_u64 s[2:3], s[10:11], s[2:3]
	s_load_b64 s[2:3], s[2:3], 0x0
	s_load_b64 s[0:1], s[0:1], 0x20
	s_delay_alu instid0(VALU_DEP_1) | instskip(NEXT) | instid1(VALU_DEP_1)
	v_mul_u32_u24_e32 v3, 0x68, v3
	v_sub_nc_u32_e32 v64, v0, v3
	s_delay_alu instid0(VALU_DEP_1)
	v_lshl_add_u32 v160, v64, 4, 0
	s_wait_kmcnt 0x0
	v_mul_lo_u32 v4, s2, v8
	v_mul_lo_u32 v5, s3, v7
	v_mad_co_u64_u32 v[1:2], null, s2, v7, v[1:2]
	v_cmp_gt_u64_e32 vcc_lo, s[0:1], v[7:8]
	s_delay_alu instid0(VALU_DEP_2) | instskip(NEXT) | instid1(VALU_DEP_1)
	v_add3_u32 v2, v5, v2, v4
	v_lshlrev_b64_e32 v[66:67], 4, v[1:2]
	s_and_saveexec_b32 s1, vcc_lo
	s_cbranch_execz .LBB0_11
; %bb.10:
	v_mov_b32_e32 v65, 0
	s_delay_alu instid0(VALU_DEP_2) | instskip(SKIP_2) | instid1(VALU_DEP_3)
	v_add_co_u32 v2, s0, s8, v66
	s_wait_alu 0xf1ff
	v_add_co_ci_u32_e64 v3, s0, s9, v67, s0
	v_lshlrev_b64_e32 v[0:1], 4, v[64:65]
	s_delay_alu instid0(VALU_DEP_1) | instskip(SKIP_1) | instid1(VALU_DEP_2)
	v_add_co_u32 v40, s0, v2, v0
	s_wait_alu 0xf1ff
	v_add_co_ci_u32_e64 v41, s0, v3, v1, s0
	s_clause 0xa
	global_load_b128 v[0:3], v[40:41], off
	global_load_b128 v[4:7], v[40:41], off offset:1664
	global_load_b128 v[8:11], v[40:41], off offset:3328
	;; [unrolled: 1-line block ×10, first 2 shown]
	s_wait_loadcnt 0xa
	ds_store_b128 v160, v[0:3]
	s_wait_loadcnt 0x9
	ds_store_b128 v160, v[4:7] offset:1664
	s_wait_loadcnt 0x8
	ds_store_b128 v160, v[8:11] offset:3328
	s_wait_loadcnt 0x7
	ds_store_b128 v160, v[12:15] offset:4992
	s_wait_loadcnt 0x6
	ds_store_b128 v160, v[16:19] offset:6656
	s_wait_loadcnt 0x5
	ds_store_b128 v160, v[20:23] offset:8320
	s_wait_loadcnt 0x4
	ds_store_b128 v160, v[24:27] offset:9984
	s_wait_loadcnt 0x3
	ds_store_b128 v160, v[28:31] offset:11648
	s_wait_loadcnt 0x2
	ds_store_b128 v160, v[32:35] offset:13312
	s_wait_loadcnt 0x1
	ds_store_b128 v160, v[36:39] offset:14976
	s_wait_loadcnt 0x0
	ds_store_b128 v160, v[40:43] offset:16640
.LBB0_11:
	s_wait_alu 0xfffe
	s_or_b32 exec_lo, exec_lo, s1
	global_wb scope:SCOPE_SE
	s_wait_dscnt 0x0
	s_barrier_signal -1
	s_barrier_wait -1
	global_inv scope:SCOPE_SE
	ds_load_b128 v[8:11], v160 offset:16896
	ds_load_b128 v[44:47], v160 offset:1408
	ds_load_b128 v[24:27], v160
	ds_load_b128 v[12:15], v160 offset:15488
	ds_load_b128 v[52:55], v160 offset:2816
	ds_load_b128 v[48:51], v160 offset:4224
	s_mov_b32 s6, 0x4267c47c
	s_mov_b32 s2, 0x42a4c3d2
	s_mov_b32 s7, 0xbfddbe06
	s_mov_b32 s3, 0xbfea55e2
	ds_load_b128 v[16:19], v160 offset:14080
	s_mov_b32 s16, 0xe00740e9
	s_mov_b32 s10, 0x1ea71119
	;; [unrolled: 1-line block ×6, first 2 shown]
	ds_load_b128 v[20:23], v160 offset:12672
	ds_load_b128 v[56:59], v160 offset:5632
	s_mov_b32 s20, 0x66966769
	s_mov_b32 s14, 0xb2365da1
	;; [unrolled: 1-line block ×5, first 2 shown]
	s_wait_dscnt 0x7
	v_add_f64_e64 v[156:157], v[46:47], -v[10:11]
	v_add_f64_e64 v[106:107], v[44:45], -v[8:9]
	s_wait_dscnt 0x4
	v_add_f64_e64 v[116:117], v[54:55], -v[14:15]
	v_add_f64_e64 v[102:103], v[52:53], -v[12:13]
	v_add_f64_e32 v[108:109], v[44:45], v[8:9]
	v_add_f64_e32 v[158:159], v[46:47], v[10:11]
	;; [unrolled: 1-line block ×3, first 2 shown]
	s_wait_dscnt 0x2
	v_add_f64_e64 v[126:127], v[50:51], -v[18:19]
	v_add_f64_e64 v[138:139], v[48:49], -v[16:17]
	v_add_f64_e32 v[152:153], v[54:55], v[14:15]
	s_mov_b32 s35, 0xbfcea1e5
	v_add_f64_e32 v[118:119], v[48:49], v[16:17]
	v_add_f64_e32 v[154:155], v[50:51], v[18:19]
	ds_load_b128 v[40:43], v160 offset:7040
	ds_load_b128 v[28:31], v160 offset:11264
	s_wait_dscnt 0x2
	v_add_f64_e64 v[100:101], v[58:59], -v[22:23]
	v_add_f64_e64 v[78:79], v[56:57], -v[20:21]
	s_mov_b32 s26, 0xebaa3ed8
	s_mov_b32 s18, 0x24c2f84
	;; [unrolled: 1-line block ×6, first 2 shown]
	v_add_f64_e32 v[80:81], v[56:57], v[20:21]
	v_add_f64_e32 v[148:149], v[58:59], v[22:23]
	s_mov_b32 s22, 0xd0032e0c
	s_mov_b32 s23, 0xbfe7f3cc
	s_mov_b32 s25, 0xbfe5384d
	s_mov_b32 s31, 0x3fefc445
	s_wait_alu 0xfffe
	s_mov_b32 s24, s18
	s_mov_b32 s30, s20
	;; [unrolled: 1-line block ×4, first 2 shown]
	s_mov_b32 s33, exec_lo
	s_wait_dscnt 0x0
	v_add_f64_e64 v[98:99], v[42:43], -v[30:31]
	v_add_f64_e64 v[150:151], v[40:41], -v[28:29]
	v_add_f64_e32 v[76:77], v[40:41], v[28:29]
	v_add_f64_e32 v[124:125], v[42:43], v[30:31]
	v_mul_f64_e32 v[110:111], s[6:7], v[156:157]
	v_mul_f64_e32 v[112:113], s[6:7], v[106:107]
	;; [unrolled: 1-line block ×16, first 2 shown]
	s_wait_alu 0xfffe
	v_mul_f64_e32 v[82:83], s[24:25], v[98:99]
	v_mul_f64_e32 v[84:85], s[24:25], v[150:151]
	;; [unrolled: 1-line block ×4, first 2 shown]
	v_fma_f64 v[0:1], v[108:109], s[16:17], v[110:111]
	v_fma_f64 v[2:3], v[158:159], s[16:17], -v[112:113]
	v_fma_f64 v[4:5], v[108:109], s[10:11], v[140:141]
	v_fma_f64 v[6:7], v[158:159], s[10:11], -v[144:145]
	;; [unrolled: 2-line block ×10, first 2 shown]
	v_add_f64_e32 v[0:1], v[24:25], v[0:1]
	v_add_f64_e32 v[2:3], v[26:27], v[2:3]
	;; [unrolled: 1-line block ×4, first 2 shown]
	s_delay_alu instid0(VALU_DEP_4) | instskip(NEXT) | instid1(VALU_DEP_4)
	v_add_f64_e32 v[0:1], v[32:33], v[0:1]
	v_add_f64_e32 v[2:3], v[34:35], v[2:3]
	s_delay_alu instid0(VALU_DEP_4) | instskip(NEXT) | instid1(VALU_DEP_4)
	v_add_f64_e32 v[4:5], v[36:37], v[4:5]
	v_add_f64_e32 v[6:7], v[38:39], v[6:7]
	ds_load_b128 v[36:39], v160 offset:8448
	ds_load_b128 v[32:35], v160 offset:9856
	global_wb scope:SCOPE_SE
	s_wait_dscnt 0x0
	s_barrier_signal -1
	s_barrier_wait -1
	global_inv scope:SCOPE_SE
	v_add_f64_e64 v[104:105], v[38:39], -v[34:35]
	v_add_f64_e64 v[60:61], v[36:37], -v[32:33]
	v_add_f64_e32 v[114:115], v[38:39], v[34:35]
	v_add_f64_e32 v[0:1], v[62:63], v[0:1]
	;; [unrolled: 1-line block ×6, first 2 shown]
	v_mul_f64_e32 v[68:69], s[34:35], v[104:105]
	v_mul_f64_e32 v[70:71], s[34:35], v[60:61]
	;; [unrolled: 1-line block ×4, first 2 shown]
	v_add_f64_e32 v[0:1], v[161:162], v[0:1]
	v_add_f64_e32 v[2:3], v[163:164], v[2:3]
	;; [unrolled: 1-line block ×4, first 2 shown]
	v_fma_f64 v[161:162], v[62:63], s[28:29], v[68:69]
	v_fma_f64 v[163:164], v[114:115], s[28:29], -v[70:71]
	v_fma_f64 v[165:166], v[62:63], s[16:17], v[72:73]
	v_fma_f64 v[167:168], v[114:115], s[16:17], -v[74:75]
	v_add_f64_e32 v[0:1], v[169:170], v[0:1]
	v_add_f64_e32 v[2:3], v[171:172], v[2:3]
	;; [unrolled: 1-line block ×4, first 2 shown]
	s_delay_alu instid0(VALU_DEP_4) | instskip(NEXT) | instid1(VALU_DEP_4)
	v_add_f64_e32 v[4:5], v[161:162], v[0:1]
	v_add_f64_e32 v[6:7], v[163:164], v[2:3]
	s_delay_alu instid0(VALU_DEP_4) | instskip(NEXT) | instid1(VALU_DEP_4)
	v_add_f64_e32 v[0:1], v[165:166], v[169:170]
	v_add_f64_e32 v[2:3], v[167:168], v[171:172]
	v_cmpx_gt_u32_e32 0x58, v64
	s_cbranch_execz .LBB0_13
; %bb.12:
	v_add_f64_e32 v[46:47], v[26:27], v[46:47]
	v_add_f64_e32 v[44:45], v[24:25], v[44:45]
	v_mul_f64_e32 v[161:162], s[26:27], v[158:159]
	v_mul_f64_e32 v[165:166], s[10:11], v[158:159]
	;; [unrolled: 1-line block ×6, first 2 shown]
	s_mov_b32 s1, 0x3fedeba7
	s_mov_b32 s41, 0x3fcea1e5
	;; [unrolled: 1-line block ×4, first 2 shown]
	v_mul_f64_e32 v[197:198], s[26:27], v[152:153]
	v_mul_f64_e32 v[201:202], s[14:15], v[152:153]
	;; [unrolled: 1-line block ×21, first 2 shown]
	s_mov_b32 s39, 0x3fea55e2
	s_mov_b32 s38, s2
	v_mul_f64_e32 v[181:182], s[10:11], v[148:149]
	v_mul_f64_e32 v[183:184], s[28:29], v[148:149]
	;; [unrolled: 1-line block ×3, first 2 shown]
	v_add_f64_e32 v[46:47], v[46:47], v[54:55]
	v_add_f64_e32 v[44:45], v[44:45], v[52:53]
	v_mul_f64_e32 v[52:53], s[22:23], v[158:159]
	v_mul_f64_e32 v[54:55], s[14:15], v[158:159]
	v_fma_f64 v[225:226], v[106:107], s[30:31], v[161:162]
	v_add_f64_e32 v[144:145], v[144:145], v[165:166]
	v_add_f64_e64 v[140:141], v[169:170], -v[140:141]
	v_fma_f64 v[227:228], v[108:109], s[22:23], v[163:164]
	v_fma_f64 v[165:166], v[108:109], s[14:15], -v[167:168]
	v_add_f64_e64 v[110:111], v[171:172], -v[110:111]
	v_fma_f64 v[231:232], v[102:103], s[20:21], v[197:198]
	v_fma_f64 v[197:198], v[102:103], s[30:31], v[197:198]
	v_add_f64_e32 v[136:137], v[136:137], v[201:202]
	v_add_f64_e64 v[130:131], v[205:206], -v[130:131]
	v_mul_f64_e32 v[205:206], s[2:3], v[126:127]
	v_mul_f64_e32 v[201:202], s[22:23], v[80:81]
	v_fma_f64 v[229:230], v[138:139], s[12:13], v[193:194]
	v_add_f64_e32 v[146:147], v[146:147], v[199:200]
	v_add_f64_e64 v[142:143], v[203:204], -v[142:143]
	v_mul_f64_e32 v[203:204], s[24:25], v[126:127]
	v_add_f64_e32 v[134:135], v[134:135], v[154:155]
	v_mul_f64_e32 v[154:155], s[36:37], v[126:127]
	s_wait_alu 0xfffe
	v_mul_f64_e32 v[126:127], s[0:1], v[126:127]
	v_mul_f64_e32 v[199:200], s[22:23], v[148:149]
	v_fma_f64 v[169:170], v[150:151], s[34:35], v[177:178]
	v_fma_f64 v[171:172], v[150:151], s[40:41], v[177:178]
	;; [unrolled: 1-line block ×3, first 2 shown]
	v_add_f64_e64 v[120:121], v[215:216], -v[120:121]
	v_add_f64_e32 v[46:47], v[46:47], v[50:51]
	v_add_f64_e32 v[44:45], v[44:45], v[48:49]
	v_mul_f64_e32 v[48:49], s[28:29], v[158:159]
	v_mul_f64_e32 v[50:51], s[34:35], v[156:157]
	;; [unrolled: 1-line block ×4, first 2 shown]
	v_fma_f64 v[221:222], v[106:107], s[18:19], v[52:53]
	v_fma_f64 v[52:53], v[106:107], s[24:25], v[52:53]
	;; [unrolled: 1-line block ×4, first 2 shown]
	v_add_f64_e32 v[144:145], v[26:27], v[144:145]
	v_add_f64_e32 v[140:141], v[24:25], v[140:141]
	;; [unrolled: 1-line block ×5, first 2 shown]
	v_mul_f64_e32 v[227:228], s[20:21], v[100:101]
	v_add_f64_e64 v[94:95], v[201:202], -v[94:95]
	v_add_f64_e32 v[96:97], v[96:97], v[199:200]
	v_add_f64_e32 v[46:47], v[46:47], v[58:59]
	;; [unrolled: 1-line block ×3, first 2 shown]
	v_mul_f64_e32 v[56:57], s[22:23], v[152:153]
	v_mul_f64_e32 v[58:59], s[28:29], v[152:153]
	v_fma_f64 v[217:218], v[106:107], s[40:41], v[48:49]
	v_fma_f64 v[48:49], v[106:107], s[34:35], v[48:49]
	;; [unrolled: 1-line block ×4, first 2 shown]
	v_fma_f64 v[50:51], v[108:109], s[28:29], -v[50:51]
	v_fma_f64 v[161:162], v[108:109], s[22:23], -v[163:164]
	v_fma_f64 v[163:164], v[108:109], s[14:15], v[167:168]
	v_fma_f64 v[167:168], v[108:109], s[26:27], v[156:157]
	v_fma_f64 v[108:109], v[108:109], s[26:27], -v[156:157]
	v_mul_f64_e32 v[152:153], s[10:11], v[152:153]
	v_add_f64_e32 v[112:113], v[112:113], v[158:159]
	v_add_f64_e32 v[52:53], v[26:27], v[52:53]
	;; [unrolled: 1-line block ×3, first 2 shown]
	v_fma_f64 v[156:157], v[150:151], s[0:1], v[173:174]
	v_fma_f64 v[158:159], v[150:151], s[12:13], v[173:174]
	;; [unrolled: 1-line block ×3, first 2 shown]
	v_add_f64_e32 v[221:222], v[26:27], v[221:222]
	v_add_f64_e32 v[223:224], v[26:27], v[223:224]
	;; [unrolled: 1-line block ×4, first 2 shown]
	v_mul_f64_e32 v[144:145], s[28:29], v[114:115]
	v_mul_f64_e32 v[140:141], s[16:17], v[62:63]
	v_add_f64_e32 v[42:43], v[46:47], v[42:43]
	v_add_f64_e32 v[40:41], v[44:45], v[40:41]
	v_fma_f64 v[233:234], v[102:103], s[24:25], v[56:57]
	v_fma_f64 v[56:57], v[102:103], s[18:19], v[56:57]
	;; [unrolled: 1-line block ×4, first 2 shown]
	v_add_f64_e32 v[106:107], v[26:27], v[106:107]
	v_fma_f64 v[44:45], v[150:151], s[6:7], v[175:176]
	v_fma_f64 v[46:47], v[150:151], s[36:37], v[175:176]
	v_add_f64_e32 v[161:162], v[24:25], v[161:162]
	v_add_f64_e32 v[163:164], v[24:25], v[163:164]
	v_fma_f64 v[150:151], v[150:151], s[2:3], v[179:180]
	v_add_f64_e32 v[108:109], v[24:25], v[108:109]
	v_add_f64_e32 v[128:129], v[128:129], v[152:153]
	v_fma_f64 v[152:153], v[122:123], s[26:27], v[211:212]
	v_fma_f64 v[175:176], v[138:139], s[18:19], v[187:188]
	;; [unrolled: 1-line block ×9, first 2 shown]
	v_add_f64_e32 v[48:49], v[26:27], v[48:49]
	v_add_f64_e32 v[50:51], v[24:25], v[50:51]
	;; [unrolled: 1-line block ×3, first 2 shown]
	v_mul_f64_e32 v[102:103], s[16:17], v[148:149]
	v_add_f64_e32 v[52:53], v[197:198], v[52:53]
	v_mul_f64_e32 v[148:149], s[14:15], v[148:149]
	v_add_f64_e32 v[221:222], v[231:232], v[221:222]
	v_add_f64_e32 v[136:137], v[146:147], v[136:137]
	;; [unrolled: 1-line block ×3, first 2 shown]
	v_mul_f64_e32 v[231:232], s[36:37], v[98:99]
	v_mul_f64_e32 v[197:198], s[26:27], v[114:115]
	v_add_f64_e64 v[72:73], v[140:141], -v[72:73]
	v_add_f64_e32 v[70:71], v[70:71], v[144:145]
	v_add_f64_e32 v[38:39], v[42:43], v[38:39]
	;; [unrolled: 1-line block ×3, first 2 shown]
	v_add_f64_e64 v[40:41], v[207:208], -v[132:133]
	v_fma_f64 v[42:43], v[122:123], s[16:17], v[209:210]
	v_fma_f64 v[132:133], v[122:123], s[16:17], -v[209:210]
	v_add_f64_e32 v[209:210], v[26:27], v[217:218]
	v_add_f64_e32 v[217:218], v[24:25], v[219:220]
	v_fma_f64 v[219:220], v[122:123], s[28:29], v[116:117]
	v_fma_f64 v[116:117], v[122:123], s[28:29], -v[116:117]
	v_fma_f64 v[207:208], v[122:123], s[26:27], -v[211:212]
	v_fma_f64 v[211:212], v[122:123], s[22:23], v[213:214]
	v_fma_f64 v[213:214], v[122:123], s[22:23], -v[213:214]
	v_add_f64_e32 v[26:27], v[26:27], v[112:113]
	v_add_f64_e32 v[24:25], v[24:25], v[110:111]
	v_add_f64_e32 v[54:55], v[56:57], v[54:55]
	v_add_f64_e32 v[58:59], v[58:59], v[106:107]
	v_fma_f64 v[110:111], v[118:119], s[22:23], v[203:204]
	v_fma_f64 v[112:113], v[118:119], s[22:23], -v[203:204]
	v_fma_f64 v[203:204], v[118:119], s[10:11], v[205:206]
	v_fma_f64 v[205:206], v[118:119], s[10:11], -v[205:206]
	v_mul_f64_e32 v[122:123], s[14:15], v[80:81]
	v_add_f64_e32 v[152:153], v[152:153], v[215:216]
	v_add_f64_e32 v[223:224], v[233:234], v[223:224]
	v_add_f64_e32 v[48:49], v[195:196], v[48:49]
	v_add_f64_e32 v[225:226], v[235:236], v[225:226]
	v_mul_f64_e32 v[215:216], s[2:3], v[98:99]
	v_mul_f64_e32 v[195:196], s[22:23], v[76:77]
	v_add_f64_e32 v[52:53], v[187:188], v[52:53]
	v_add_f64_e32 v[90:91], v[90:91], v[148:149]
	v_mul_f64_e32 v[106:107], s[22:23], v[114:115]
	v_mul_f64_e32 v[56:57], s[30:31], v[104:105]
	;; [unrolled: 1-line block ×4, first 2 shown]
	v_add_f64_e32 v[34:35], v[38:39], v[34:35]
	v_add_f64_e32 v[32:33], v[36:37], v[32:33]
	v_fma_f64 v[36:37], v[118:119], s[16:17], v[154:155]
	v_fma_f64 v[38:39], v[118:119], s[16:17], -v[154:155]
	v_fma_f64 v[154:155], v[118:119], s[14:15], v[126:127]
	v_fma_f64 v[118:119], v[118:119], s[14:15], -v[126:127]
	v_mul_f64_e32 v[126:127], s[36:37], v[100:101]
	v_add_f64_e32 v[50:51], v[132:133], v[50:51]
	v_add_f64_e32 v[108:109], v[116:117], v[108:109]
	;; [unrolled: 1-line block ×5, first 2 shown]
	v_mul_f64_e32 v[211:212], s[38:39], v[100:101]
	v_mul_f64_e32 v[100:101], s[40:41], v[100:101]
	v_add_f64_e32 v[193:194], v[193:194], v[209:210]
	v_add_f64_e32 v[42:43], v[42:43], v[217:218]
	;; [unrolled: 1-line block ×5, first 2 shown]
	v_mul_f64_e32 v[209:210], s[26:27], v[124:125]
	v_mul_f64_e32 v[217:218], s[26:27], v[76:77]
	v_fma_f64 v[219:220], v[78:79], s[2:3], v[181:182]
	v_fma_f64 v[181:182], v[78:79], s[38:39], v[181:182]
	;; [unrolled: 1-line block ×5, first 2 shown]
	v_add_f64_e32 v[54:55], v[191:192], v[54:55]
	v_add_f64_e32 v[58:59], v[138:139], v[58:59]
	v_mul_f64_e32 v[124:125], s[22:23], v[124:125]
	v_mul_f64_e32 v[132:133], s[12:13], v[98:99]
	;; [unrolled: 1-line block ×3, first 2 shown]
	v_add_f64_e64 v[88:89], v[122:123], -v[88:89]
	v_fma_f64 v[122:123], v[80:81], s[26:27], -v[227:228]
	v_add_f64_e32 v[48:49], v[177:178], v[48:49]
	v_add_f64_e32 v[138:139], v[189:190], v[223:224]
	v_add_f64_e32 v[142:143], v[229:230], v[225:226]
	v_mul_f64_e32 v[207:208], s[14:15], v[114:115]
	v_mul_f64_e32 v[213:214], s[10:11], v[114:115]
	v_add_f64_e32 v[30:31], v[34:35], v[30:31]
	v_add_f64_e32 v[28:29], v[32:33], v[28:29]
	v_fma_f64 v[32:33], v[78:79], s[30:31], v[185:186]
	v_fma_f64 v[34:35], v[78:79], s[20:21], v[185:186]
	;; [unrolled: 1-line block ×5, first 2 shown]
	v_fma_f64 v[126:127], v[80:81], s[16:17], -v[126:127]
	v_add_f64_e32 v[108:109], v[118:119], v[108:109]
	v_add_f64_e32 v[118:119], v[205:206], v[161:162]
	;; [unrolled: 1-line block ×4, first 2 shown]
	v_fma_f64 v[185:186], v[80:81], s[10:11], v[211:212]
	v_fma_f64 v[199:200], v[80:81], s[10:11], -v[211:212]
	v_fma_f64 v[201:202], v[80:81], s[28:29], v[100:101]
	v_fma_f64 v[80:81], v[80:81], s[28:29], -v[100:101]
	v_add_f64_e32 v[100:101], v[175:176], v[193:194]
	v_add_f64_e32 v[42:43], v[110:111], v[42:43]
	;; [unrolled: 1-line block ×8, first 2 shown]
	v_mul_f64_e32 v[114:115], s[16:17], v[114:115]
	v_add_f64_e32 v[52:53], v[183:184], v[52:53]
	v_mul_f64_e32 v[116:117], s[24:25], v[104:105]
	v_fma_f64 v[134:135], v[76:77], s[10:11], -v[215:216]
	v_mul_f64_e32 v[104:105], s[38:39], v[104:105]
	v_add_f64_e32 v[40:41], v[84:85], v[124:125]
	v_fma_f64 v[84:85], v[76:77], s[14:15], v[132:133]
	v_fma_f64 v[124:125], v[76:77], s[16:17], -v[231:232]
	v_fma_f64 v[163:164], v[76:77], s[28:29], v[98:99]
	v_add_f64_e32 v[48:49], v[181:182], v[48:49]
	v_add_f64_e64 v[82:83], v[195:196], -v[82:83]
	v_fma_f64 v[152:153], v[60:61], s[20:21], v[197:198]
	v_fma_f64 v[161:162], v[60:61], s[30:31], v[197:198]
	;; [unrolled: 1-line block ×3, first 2 shown]
	v_add_f64_e32 v[22:23], v[30:31], v[22:23]
	v_add_f64_e32 v[20:21], v[28:29], v[20:21]
	;; [unrolled: 1-line block ×3, first 2 shown]
	v_add_f64_e64 v[30:31], v[217:218], -v[86:87]
	v_add_f64_e32 v[34:35], v[34:35], v[54:55]
	v_add_f64_e32 v[54:55], v[78:79], v[58:59]
	;; [unrolled: 1-line block ×5, first 2 shown]
	v_fma_f64 v[86:87], v[76:77], s[14:15], -v[132:133]
	v_fma_f64 v[92:93], v[76:77], s[16:17], v[231:232]
	v_fma_f64 v[132:133], v[76:77], s[10:11], v[215:216]
	v_fma_f64 v[76:77], v[76:77], s[28:29], -v[98:99]
	v_add_f64_e32 v[38:39], v[122:123], v[38:39]
	v_add_f64_e32 v[50:51], v[199:200], v[50:51]
	;; [unrolled: 1-line block ×15, first 2 shown]
	v_fma_f64 v[90:91], v[60:61], s[12:13], v[207:208]
	v_fma_f64 v[112:113], v[60:61], s[2:3], v[213:214]
	;; [unrolled: 1-line block ×4, first 2 shown]
	v_fma_f64 v[56:57], v[62:63], s[26:27], -v[56:57]
	v_fma_f64 v[88:89], v[62:63], s[14:15], v[233:234]
	v_fma_f64 v[108:109], v[62:63], s[14:15], -v[233:234]
	v_fma_f64 v[122:123], v[62:63], s[22:23], v[116:117]
	v_fma_f64 v[114:115], v[62:63], s[10:11], v[104:105]
	v_add_f64_e32 v[48:49], v[158:159], v[48:49]
	v_add_f64_e32 v[18:19], v[22:23], v[18:19]
	;; [unrolled: 1-line block ×3, first 2 shown]
	v_fma_f64 v[20:21], v[60:61], s[0:1], v[207:208]
	v_fma_f64 v[60:61], v[60:61], s[24:25], v[106:107]
	v_fma_f64 v[106:107], v[62:63], s[22:23], -v[116:117]
	v_add_f64_e32 v[52:53], v[150:151], v[54:55]
	v_add_f64_e32 v[28:29], v[28:29], v[58:59]
	v_add_f64_e32 v[54:55], v[30:31], v[78:79]
	v_add_f64_e32 v[34:35], v[171:172], v[34:35]
	v_add_f64_e32 v[58:59], v[134:135], v[94:95]
	v_fma_f64 v[62:63], v[62:63], s[10:11], -v[104:105]
	v_add_f64_e64 v[68:69], v[235:236], -v[68:69]
	v_add_f64_e32 v[76:77], v[76:77], v[38:39]
	v_add_f64_e32 v[50:51], v[86:87], v[50:51]
	;; [unrolled: 1-line block ×22, first 2 shown]
	v_mad_u32_u24 v52, 0xc0, v64, v160
	v_add_f64_e32 v[28:29], v[62:63], v[76:77]
	v_add_f64_e32 v[16:17], v[56:57], v[50:51]
	;; [unrolled: 1-line block ×15, first 2 shown]
	ds_store_b128 v52, v[36:39] offset:32
	ds_store_b128 v52, v[32:35] offset:48
	;; [unrolled: 1-line block ×11, first 2 shown]
	ds_store_b128 v52, v[8:11]
	ds_store_b128 v52, v[4:7] offset:192
.LBB0_13:
	s_or_b32 exec_lo, exec_lo, s33
	v_and_b32_e32 v8, 0xff, v64
	global_wb scope:SCOPE_SE
	s_wait_dscnt 0x0
	s_barrier_signal -1
	s_barrier_wait -1
	global_inv scope:SCOPE_SE
	v_mul_lo_u16 v8, 0x4f, v8
	s_mov_b32 s18, 0xf8bb580b
	s_mov_b32 s19, 0xbfe14ced
	;; [unrolled: 1-line block ×4, first 2 shown]
	v_lshrrev_b16 v24, 10, v8
	s_mov_b32 s16, 0x43842ef
	s_mov_b32 s17, 0xbfefac9e
	s_mov_b32 s20, 0xbb3a28a1
	s_mov_b32 s21, 0xbfe82f19
	v_mul_lo_u16 v8, v24, 13
	s_mov_b32 s22, 0xfd768dbf
	s_mov_b32 s23, 0xbfd207e7
	;; [unrolled: 1-line block ×4, first 2 shown]
	v_sub_nc_u16 v8, v64, v8
	s_mov_b32 s1, 0x3feaeb8c
	s_mov_b32 s3, 0x3fda9628
	;; [unrolled: 1-line block ×4, first 2 shown]
	v_and_b32_e32 v25, 0xff, v8
	s_wait_alu 0xfffe
	s_mov_b32 s24, s18
	s_mov_b32 s7, 0xbfc2375f
	;; [unrolled: 1-line block ×4, first 2 shown]
	v_mul_u32_u24_e32 v8, 10, v25
	s_mov_b32 s26, s22
	s_mov_b32 s11, 0xbfe4f49e
	;; [unrolled: 1-line block ×4, first 2 shown]
	v_lshlrev_b32_e32 v20, 4, v8
	s_mov_b32 s28, s16
	s_mov_b32 s13, 0xbfeeb42a
	s_clause 0x9
	global_load_b128 v[8:11], v20, s[4:5]
	global_load_b128 v[12:15], v20, s[4:5] offset:144
	global_load_b128 v[16:19], v20, s[4:5] offset:16
	;; [unrolled: 1-line block ×9, first 2 shown]
	ds_load_b128 v[20:23], v160 offset:1664
	ds_load_b128 v[54:57], v160 offset:16640
	;; [unrolled: 1-line block ×10, first 2 shown]
	s_wait_loadcnt_dscnt 0x909
	v_mul_f64_e32 v[62:63], v[22:23], v[10:11]
	v_mul_f64_e32 v[10:11], v[20:21], v[10:11]
	s_wait_loadcnt_dscnt 0x808
	v_mul_f64_e32 v[96:97], v[54:55], v[14:15]
	v_mul_f64_e32 v[14:15], v[56:57], v[14:15]
	;; [unrolled: 3-line block ×7, first 2 shown]
	s_wait_loadcnt 0x2
	v_mul_f64_e32 v[110:111], v[82:83], v[44:45]
	v_mul_f64_e32 v[44:45], v[80:81], v[44:45]
	s_wait_loadcnt_dscnt 0x101
	v_mul_f64_e32 v[112:113], v[90:91], v[48:49]
	v_mul_f64_e32 v[48:49], v[88:89], v[48:49]
	s_wait_loadcnt_dscnt 0x0
	v_mul_f64_e32 v[114:115], v[94:95], v[52:53]
	v_mul_f64_e32 v[52:53], v[92:93], v[52:53]
	v_fma_f64 v[62:63], v[20:21], v[8:9], -v[62:63]
	v_fma_f64 v[102:103], v[22:23], v[8:9], v[10:11]
	ds_load_b128 v[8:11], v160
	v_fma_f64 v[20:21], v[56:57], v[12:13], v[96:97]
	v_fma_f64 v[22:23], v[54:55], v[12:13], -v[14:15]
	v_fma_f64 v[54:55], v[58:59], v[16:17], -v[98:99]
	v_fma_f64 v[56:57], v[60:61], v[16:17], v[18:19]
	v_fma_f64 v[12:13], v[70:71], v[26:27], v[100:101]
	v_fma_f64 v[14:15], v[68:69], v[26:27], -v[28:29]
	v_fma_f64 v[58:59], v[72:73], v[30:31], -v[104:105]
	v_fma_f64 v[30:31], v[74:75], v[30:31], v[32:33]
	;; [unrolled: 4-line block ×3, first 2 shown]
	v_fma_f64 v[36:37], v[80:81], v[42:43], -v[110:111]
	v_fma_f64 v[38:39], v[82:83], v[42:43], v[44:45]
	v_fma_f64 v[40:41], v[88:89], v[46:47], -v[112:113]
	v_fma_f64 v[42:43], v[90:91], v[46:47], v[48:49]
	;; [unrolled: 2-line block ×3, first 2 shown]
	global_wb scope:SCOPE_SE
	s_wait_dscnt 0x0
	s_barrier_signal -1
	s_barrier_wait -1
	global_inv scope:SCOPE_SE
	v_add_f64_e32 v[26:27], v[8:9], v[62:63]
	v_add_f64_e32 v[28:29], v[10:11], v[102:103]
	v_add_f64_e64 v[48:49], v[102:103], -v[20:21]
	v_add_f64_e64 v[50:51], v[62:63], -v[22:23]
	v_add_f64_e32 v[62:63], v[62:63], v[22:23]
	v_add_f64_e32 v[72:73], v[102:103], v[20:21]
	v_add_f64_e64 v[52:53], v[56:57], -v[12:13]
	v_add_f64_e64 v[60:61], v[54:55], -v[14:15]
	;; [unrolled: 1-line block ×4, first 2 shown]
	v_add_f64_e32 v[74:75], v[58:59], v[18:19]
	v_add_f64_e32 v[76:77], v[30:31], v[16:17]
	;; [unrolled: 1-line block ×3, first 2 shown]
	v_add_f64_e64 v[80:81], v[34:35], -v[38:39]
	v_add_f64_e64 v[82:83], v[32:33], -v[36:37]
	v_add_f64_e32 v[84:85], v[34:35], v[38:39]
	v_add_f64_e64 v[90:91], v[40:41], -v[44:45]
	v_add_f64_e32 v[86:87], v[40:41], v[44:45]
	v_add_f64_e32 v[88:89], v[42:43], v[46:47]
	v_add_f64_e64 v[92:93], v[42:43], -v[46:47]
	v_add_f64_e32 v[26:27], v[26:27], v[54:55]
	v_add_f64_e32 v[28:29], v[28:29], v[56:57]
	v_add_f64_e32 v[54:55], v[54:55], v[14:15]
	v_mul_f64_e32 v[94:95], s[18:19], v[48:49]
	v_mul_f64_e32 v[96:97], s[18:19], v[50:51]
	;; [unrolled: 1-line block ×12, first 2 shown]
	s_mov_b32 s15, 0x3fed1bb4
	v_add_f64_e32 v[56:57], v[56:57], v[12:13]
	v_mul_f64_e32 v[114:115], s[20:21], v[52:53]
	v_mul_f64_e32 v[116:117], s[20:21], v[60:61]
	;; [unrolled: 1-line block ×3, first 2 shown]
	s_wait_alu 0xfffe
	v_mul_f64_e32 v[161:162], s[24:25], v[90:91]
	v_mul_f64_e32 v[165:166], s[20:21], v[90:91]
	;; [unrolled: 1-line block ×18, first 2 shown]
	v_add_f64_e32 v[26:27], v[26:27], v[58:59]
	v_add_f64_e32 v[28:29], v[28:29], v[30:31]
	v_mul_f64_e32 v[30:31], s[26:27], v[52:53]
	v_mul_f64_e32 v[58:59], s[26:27], v[60:61]
	v_mul_f64_e32 v[52:53], s[24:25], v[52:53]
	v_fma_f64 v[171:172], v[62:63], s[2:3], -v[98:99]
	v_fma_f64 v[173:174], v[72:73], s[2:3], v[100:101]
	v_fma_f64 v[98:99], v[62:63], s[2:3], v[98:99]
	v_fma_f64 v[175:176], v[62:63], s[6:7], -v[102:103]
	v_fma_f64 v[177:178], v[72:73], s[6:7], v[104:105]
	v_fma_f64 v[102:103], v[62:63], s[6:7], v[102:103]
	v_fma_f64 v[179:180], v[62:63], s[10:11], -v[106:107]
	v_fma_f64 v[181:182], v[72:73], s[10:11], v[108:109]
	v_mul_f64_e32 v[60:61], s[24:25], v[60:61]
	v_fma_f64 v[183:184], v[62:63], s[12:13], -v[48:49]
	v_fma_f64 v[185:186], v[72:73], s[12:13], v[50:51]
	v_fma_f64 v[106:107], v[62:63], s[10:11], v[106:107]
	;; [unrolled: 1-line block ×3, first 2 shown]
	v_fma_f64 v[50:51], v[72:73], s[12:13], -v[50:51]
	v_fma_f64 v[108:109], v[72:73], s[10:11], -v[108:109]
	;; [unrolled: 1-line block ×5, first 2 shown]
	v_fma_f64 v[189:190], v[56:57], s[10:11], v[116:117]
	v_fma_f64 v[114:115], v[54:55], s[10:11], v[114:115]
	v_fma_f64 v[195:196], v[54:55], s[6:7], -v[118:119]
	v_fma_f64 v[197:198], v[56:57], s[6:7], v[120:121]
	v_fma_f64 v[118:119], v[54:55], s[6:7], v[118:119]
	v_fma_f64 v[116:117], v[56:57], s[10:11], -v[116:117]
	v_mul_f64_e32 v[144:145], s[28:29], v[82:83]
	v_fma_f64 v[199:200], v[74:75], s[12:13], -v[126:127]
	v_fma_f64 v[201:202], v[76:77], s[12:13], v[128:129]
	v_fma_f64 v[126:127], v[74:75], s[12:13], v[126:127]
	v_fma_f64 v[128:129], v[76:77], s[12:13], -v[128:129]
	v_fma_f64 v[203:204], v[74:75], s[0:1], -v[130:131]
	v_fma_f64 v[205:206], v[76:77], s[0:1], v[132:133]
	v_fma_f64 v[130:131], v[74:75], s[0:1], v[130:131]
	v_fma_f64 v[132:133], v[76:77], s[0:1], -v[132:133]
	v_add_f64_e32 v[26:27], v[26:27], v[32:33]
	v_add_f64_e32 v[28:29], v[28:29], v[34:35]
	v_mul_f64_e32 v[32:33], s[14:15], v[90:91]
	v_fma_f64 v[34:35], v[62:63], s[0:1], -v[94:95]
	v_fma_f64 v[90:91], v[72:73], s[0:1], v[96:97]
	v_fma_f64 v[94:95], v[62:63], s[0:1], v[94:95]
	v_fma_f64 v[96:97], v[72:73], s[0:1], -v[96:97]
	v_fma_f64 v[62:63], v[54:55], s[2:3], -v[110:111]
	v_fma_f64 v[72:73], v[56:57], s[2:3], v[112:113]
	v_fma_f64 v[110:111], v[54:55], s[2:3], v[110:111]
	v_fma_f64 v[112:113], v[56:57], s[2:3], -v[112:113]
	v_add_f64_e32 v[171:172], v[8:9], v[171:172]
	v_add_f64_e32 v[173:174], v[10:11], v[173:174]
	v_fma_f64 v[191:192], v[54:55], s[12:13], -v[30:31]
	v_fma_f64 v[193:194], v[56:57], s[12:13], v[58:59]
	v_add_f64_e32 v[98:99], v[8:9], v[98:99]
	v_add_f64_e32 v[175:176], v[8:9], v[175:176]
	;; [unrolled: 1-line block ×3, first 2 shown]
	v_fma_f64 v[30:31], v[54:55], s[12:13], v[30:31]
	v_add_f64_e32 v[102:103], v[8:9], v[102:103]
	v_add_f64_e32 v[179:180], v[8:9], v[179:180]
	;; [unrolled: 1-line block ×6, first 2 shown]
	v_fma_f64 v[58:59], v[56:57], s[12:13], -v[58:59]
	v_add_f64_e32 v[104:105], v[10:11], v[104:105]
	v_add_f64_e32 v[100:101], v[10:11], v[100:101]
	v_fma_f64 v[211:212], v[74:75], s[2:3], -v[68:69]
	v_fma_f64 v[213:214], v[76:77], s[2:3], v[70:71]
	v_fma_f64 v[68:69], v[74:75], s[2:3], v[68:69]
	v_fma_f64 v[70:71], v[76:77], s[2:3], -v[70:71]
	v_mul_f64_e32 v[146:147], s[18:19], v[80:81]
	v_mul_f64_e32 v[148:149], s[18:19], v[82:83]
	;; [unrolled: 1-line block ×6, first 2 shown]
	v_add_f64_e32 v[26:27], v[26:27], v[40:41]
	v_add_f64_e32 v[28:29], v[28:29], v[42:43]
	v_fma_f64 v[40:41], v[56:57], s[6:7], -v[120:121]
	v_add_f64_e32 v[34:35], v[8:9], v[34:35]
	v_fma_f64 v[42:43], v[54:55], s[0:1], -v[52:53]
	v_add_f64_e32 v[94:95], v[8:9], v[94:95]
	v_add_f64_e32 v[96:97], v[10:11], v[96:97]
	v_fma_f64 v[120:121], v[56:57], s[0:1], v[60:61]
	v_fma_f64 v[52:53], v[54:55], s[0:1], v[52:53]
	v_fma_f64 v[54:55], v[56:57], s[0:1], -v[60:61]
	v_add_f64_e32 v[8:9], v[8:9], v[48:49]
	v_add_f64_e32 v[48:49], v[10:11], v[50:51]
	;; [unrolled: 1-line block ×4, first 2 shown]
	v_fma_f64 v[56:57], v[74:75], s[6:7], -v[122:123]
	v_fma_f64 v[60:61], v[76:77], s[6:7], v[124:125]
	v_fma_f64 v[122:123], v[74:75], s[6:7], v[122:123]
	v_fma_f64 v[124:125], v[76:77], s[6:7], -v[124:125]
	v_fma_f64 v[90:91], v[74:75], s[10:11], v[134:135]
	v_fma_f64 v[108:109], v[76:77], s[10:11], -v[136:137]
	v_add_f64_e32 v[30:31], v[30:31], v[102:103]
	v_add_f64_e32 v[102:103], v[195:196], v[179:180]
	v_mul_f64_e32 v[154:155], s[22:23], v[92:93]
	v_mul_f64_e32 v[158:159], s[24:25], v[92:93]
	v_add_f64_e32 v[106:107], v[118:119], v[106:107]
	v_fma_f64 v[207:208], v[78:79], s[6:7], -v[142:143]
	v_fma_f64 v[209:210], v[84:85], s[6:7], v[144:145]
	v_mul_f64_e32 v[163:164], s[20:21], v[92:93]
	v_fma_f64 v[142:143], v[78:79], s[6:7], v[142:143]
	v_fma_f64 v[144:145], v[84:85], s[6:7], -v[144:145]
	v_mul_f64_e32 v[167:168], s[16:17], v[92:93]
	v_mul_f64_e32 v[92:93], s[14:15], v[92:93]
	v_add_f64_e32 v[26:27], v[26:27], v[44:45]
	v_add_f64_e32 v[28:29], v[28:29], v[46:47]
	v_fma_f64 v[44:45], v[74:75], s[10:11], -v[134:135]
	v_fma_f64 v[46:47], v[76:77], s[10:11], v[136:137]
	v_add_f64_e32 v[34:35], v[62:63], v[34:35]
	v_add_f64_e32 v[62:63], v[110:111], v[94:95]
	;; [unrolled: 1-line block ×17, first 2 shown]
	v_fma_f64 v[134:135], v[78:79], s[10:11], -v[138:139]
	v_fma_f64 v[136:137], v[84:85], s[10:11], v[140:141]
	v_fma_f64 v[138:139], v[78:79], s[10:11], v[138:139]
	v_fma_f64 v[140:141], v[84:85], s[10:11], -v[140:141]
	v_fma_f64 v[54:55], v[78:79], s[0:1], v[146:147]
	v_fma_f64 v[58:59], v[84:85], s[0:1], -v[148:149]
	v_fma_f64 v[72:73], v[78:79], s[12:13], -v[150:151]
	v_fma_f64 v[100:101], v[84:85], s[12:13], v[152:153]
	v_fma_f64 v[104:105], v[78:79], s[12:13], v[150:151]
	v_fma_f64 v[116:117], v[84:85], s[12:13], -v[152:153]
	v_fma_f64 v[150:151], v[78:79], s[2:3], -v[80:81]
	v_fma_f64 v[152:153], v[84:85], s[2:3], v[82:83]
	v_add_f64_e32 v[30:31], v[68:69], v[30:31]
	v_add_f64_e32 v[68:69], v[203:204], v[102:103]
	v_fma_f64 v[120:121], v[88:89], s[12:13], v[156:157]
	v_fma_f64 v[102:103], v[88:89], s[10:11], v[165:166]
	v_fma_f64 v[118:119], v[86:87], s[12:13], -v[154:155]
	v_add_f64_e32 v[26:27], v[26:27], v[36:37]
	v_add_f64_e32 v[28:29], v[28:29], v[38:39]
	v_fma_f64 v[36:37], v[78:79], s[0:1], -v[146:147]
	v_fma_f64 v[38:39], v[84:85], s[0:1], v[148:149]
	v_add_f64_e32 v[34:35], v[56:57], v[34:35]
	v_add_f64_e32 v[56:57], v[122:123], v[62:63]
	;; [unrolled: 1-line block ×5, first 2 shown]
	v_fma_f64 v[78:79], v[78:79], s[2:3], v[80:81]
	v_fma_f64 v[80:81], v[84:85], s[2:3], -v[82:83]
	v_add_f64_e32 v[84:85], v[211:212], v[98:99]
	v_add_f64_e32 v[94:95], v[213:214], v[110:111]
	;; [unrolled: 1-line block ×13, first 2 shown]
	v_fma_f64 v[146:147], v[86:87], s[12:13], v[154:155]
	v_fma_f64 v[148:149], v[88:89], s[12:13], -v[156:157]
	v_fma_f64 v[52:53], v[88:89], s[0:1], v[161:162]
	v_fma_f64 v[70:71], v[88:89], s[0:1], -v[161:162]
	v_fma_f64 v[108:109], v[88:89], s[10:11], -v[165:166]
	v_fma_f64 v[112:113], v[88:89], s[6:7], v[169:170]
	v_fma_f64 v[122:123], v[88:89], s[6:7], -v[169:170]
	v_fma_f64 v[126:127], v[88:89], s[2:3], v[32:33]
	v_fma_f64 v[88:89], v[88:89], s[2:3], -v[32:33]
	v_fma_f64 v[90:91], v[86:87], s[10:11], -v[163:164]
	;; [unrolled: 1-line block ×3, first 2 shown]
	v_add_f64_e32 v[68:69], v[72:73], v[68:69]
	v_fma_f64 v[110:111], v[86:87], s[6:7], -v[167:168]
	v_fma_f64 v[114:115], v[86:87], s[6:7], v[167:168]
	v_add_f64_e32 v[18:19], v[26:27], v[18:19]
	v_add_f64_e32 v[16:17], v[28:29], v[16:17]
	v_fma_f64 v[28:29], v[86:87], s[0:1], -v[158:159]
	v_fma_f64 v[60:61], v[86:87], s[0:1], v[158:159]
	v_add_f64_e32 v[26:27], v[134:135], v[34:35]
	v_add_f64_e32 v[32:33], v[138:139], v[56:57]
	;; [unrolled: 1-line block ×5, first 2 shown]
	v_fma_f64 v[106:107], v[86:87], s[10:11], v[163:164]
	v_fma_f64 v[86:87], v[86:87], s[2:3], v[92:93]
	v_add_f64_e32 v[36:37], v[36:37], v[84:85]
	v_add_f64_e32 v[38:39], v[38:39], v[94:95]
	;; [unrolled: 1-line block ×14, first 2 shown]
	v_cmp_gt_u32_e64 s0, 39, v64
	v_add_f64_e32 v[94:95], v[18:19], v[14:15]
	v_add_f64_e32 v[96:97], v[16:17], v[12:13]
	;; [unrolled: 1-line block ×24, first 2 shown]
	v_and_b32_e32 v20, 0xffff, v24
	v_lshlrev_b32_e32 v21, 4, v25
                                        ; implicit-def: $vgpr22_vgpr23
	s_delay_alu instid0(VALU_DEP_2) | instskip(NEXT) | instid1(VALU_DEP_1)
	v_mul_u32_u24_e32 v20, 0x8f0, v20
	v_add3_u32 v20, 0, v20, v21
	ds_store_b128 v20, v[30:33] offset:416
	ds_store_b128 v20, v[34:37] offset:624
	;; [unrolled: 1-line block ×9, first 2 shown]
	ds_store_b128 v20, v[54:57]
	ds_store_b128 v20, v[26:29] offset:208
	global_wb scope:SCOPE_SE
	s_wait_dscnt 0x0
	s_barrier_signal -1
	s_barrier_wait -1
	global_inv scope:SCOPE_SE
	ds_load_b128 v[32:35], v160
	ds_load_b128 v[60:63], v160 offset:2288
	ds_load_b128 v[48:51], v160 offset:4576
	;; [unrolled: 1-line block ×7, first 2 shown]
                                        ; implicit-def: $vgpr26_vgpr27
                                        ; implicit-def: $vgpr30_vgpr31
	s_and_saveexec_b32 s1, s0
	s_cbranch_execz .LBB0_15
; %bb.14:
	ds_load_b128 v[8:11], v160 offset:1664
	ds_load_b128 v[12:15], v160 offset:3952
	;; [unrolled: 1-line block ×8, first 2 shown]
.LBB0_15:
	s_wait_alu 0xfffe
	s_or_b32 exec_lo, exec_lo, s1
	v_mul_u32_u24_e32 v65, 7, v64
	s_mov_b32 s2, 0x667f3bcd
	s_mov_b32 s3, 0xbfe6a09e
	;; [unrolled: 1-line block ×3, first 2 shown]
	s_wait_alu 0xfffe
	s_mov_b32 s6, s2
	v_lshlrev_b32_e32 v65, 4, v65
	s_clause 0x6
	global_load_b128 v[68:71], v65, s[4:5] offset:2080
	global_load_b128 v[72:75], v65, s[4:5] offset:2096
	;; [unrolled: 1-line block ×7, first 2 shown]
	global_wb scope:SCOPE_SE
	s_wait_loadcnt_dscnt 0x0
	s_barrier_signal -1
	s_barrier_wait -1
	global_inv scope:SCOPE_SE
	v_mul_f64_e32 v[96:97], v[62:63], v[70:71]
	v_mul_f64_e32 v[70:71], v[60:61], v[70:71]
	;; [unrolled: 1-line block ×14, first 2 shown]
	v_fma_f64 v[60:61], v[60:61], v[68:69], -v[96:97]
	v_fma_f64 v[62:63], v[62:63], v[68:69], v[70:71]
	v_fma_f64 v[48:49], v[48:49], v[72:73], -v[98:99]
	v_fma_f64 v[50:51], v[50:51], v[72:73], v[74:75]
	;; [unrolled: 2-line block ×7, first 2 shown]
	v_add_f64_e64 v[52:53], v[32:33], -v[52:53]
	v_add_f64_e64 v[54:55], v[34:35], -v[54:55]
	;; [unrolled: 1-line block ×8, first 2 shown]
	v_fma_f64 v[32:33], v[32:33], 2.0, -v[52:53]
	v_fma_f64 v[34:35], v[34:35], 2.0, -v[54:55]
	;; [unrolled: 1-line block ×6, first 2 shown]
	v_add_f64_e64 v[58:59], v[52:53], -v[58:59]
	v_add_f64_e32 v[56:57], v[54:55], v[56:57]
	v_fma_f64 v[36:37], v[36:37], 2.0, -v[40:41]
	v_fma_f64 v[38:39], v[38:39], 2.0, -v[42:43]
	v_add_f64_e64 v[42:43], v[44:45], -v[42:43]
	v_add_f64_e32 v[40:41], v[46:47], v[40:41]
	v_add_f64_e64 v[48:49], v[32:33], -v[48:49]
	v_add_f64_e64 v[50:51], v[34:35], -v[50:51]
	v_fma_f64 v[68:69], v[52:53], 2.0, -v[58:59]
	v_fma_f64 v[70:71], v[54:55], 2.0, -v[56:57]
	v_add_f64_e64 v[36:37], v[60:61], -v[36:37]
	v_add_f64_e64 v[38:39], v[62:63], -v[38:39]
	v_fma_f64 v[52:53], v[44:45], 2.0, -v[42:43]
	v_fma_f64 v[44:45], v[46:47], 2.0, -v[40:41]
	s_wait_alu 0xfffe
	v_fma_f64 v[46:47], v[42:43], s[6:7], v[58:59]
	v_fma_f64 v[54:55], v[40:41], s[6:7], v[56:57]
	v_fma_f64 v[72:73], v[32:33], 2.0, -v[48:49]
	v_fma_f64 v[74:75], v[34:35], 2.0, -v[50:51]
	;; [unrolled: 1-line block ×4, first 2 shown]
	v_fma_f64 v[76:77], v[52:53], s[2:3], v[68:69]
	v_fma_f64 v[78:79], v[44:45], s[2:3], v[70:71]
	v_add_f64_e64 v[32:33], v[48:49], -v[38:39]
	v_add_f64_e32 v[34:35], v[50:51], v[36:37]
	v_fma_f64 v[36:37], v[40:41], s[2:3], v[46:47]
	v_fma_f64 v[38:39], v[42:43], s[6:7], v[54:55]
	v_add_f64_e64 v[40:41], v[72:73], -v[60:61]
	v_add_f64_e64 v[42:43], v[74:75], -v[62:63]
	v_fma_f64 v[44:45], v[44:45], s[2:3], v[76:77]
	v_fma_f64 v[46:47], v[52:53], s[6:7], v[78:79]
	v_fma_f64 v[48:49], v[48:49], 2.0, -v[32:33]
	v_fma_f64 v[50:51], v[50:51], 2.0, -v[34:35]
	;; [unrolled: 1-line block ×8, first 2 shown]
	ds_store_b128 v160, v[48:51] offset:4576
	ds_store_b128 v160, v[52:55] offset:6864
	;; [unrolled: 1-line block ×4, first 2 shown]
	ds_store_b128 v160, v[56:59]
	ds_store_b128 v160, v[60:63] offset:2288
	ds_store_b128 v160, v[32:35] offset:13728
	;; [unrolled: 1-line block ×3, first 2 shown]
	s_and_saveexec_b32 s1, s0
	s_cbranch_execz .LBB0_17
; %bb.16:
	v_add_nc_u32_e32 v32, 0x68, v64
	v_subrev_nc_u32_e32 v33, 39, v64
	s_delay_alu instid0(VALU_DEP_1) | instskip(SKIP_1) | instid1(VALU_DEP_2)
	v_cndmask_b32_e64 v32, v33, v32, s0
	v_mov_b32_e32 v33, 0
	v_mul_i32_i24_e32 v32, 7, v32
	s_delay_alu instid0(VALU_DEP_1) | instskip(NEXT) | instid1(VALU_DEP_1)
	v_lshlrev_b64_e32 v[32:33], 4, v[32:33]
	v_add_co_u32 v56, s0, s4, v32
	s_wait_alu 0xf1ff
	s_delay_alu instid0(VALU_DEP_2)
	v_add_co_ci_u32_e64 v57, s0, s5, v33, s0
	s_clause 0x6
	global_load_b128 v[32:35], v[56:57], off offset:2096
	global_load_b128 v[36:39], v[56:57], off offset:2160
	;; [unrolled: 1-line block ×7, first 2 shown]
	s_wait_loadcnt 0x6
	v_mul_f64_e32 v[60:61], v[18:19], v[34:35]
	s_wait_loadcnt 0x5
	v_mul_f64_e32 v[62:63], v[26:27], v[38:39]
	;; [unrolled: 2-line block ×4, first 2 shown]
	v_mul_f64_e32 v[46:47], v[12:13], v[46:47]
	s_wait_loadcnt 0x2
	v_mul_f64_e32 v[72:73], v[20:21], v[50:51]
	s_wait_loadcnt 0x1
	;; [unrolled: 2-line block ×3, first 2 shown]
	v_mul_f64_e32 v[76:77], v[30:31], v[58:59]
	v_mul_f64_e32 v[34:35], v[16:17], v[34:35]
	;; [unrolled: 1-line block ×7, first 2 shown]
	v_fma_f64 v[16:17], v[16:17], v[32:33], -v[60:61]
	v_fma_f64 v[24:25], v[24:25], v[36:37], -v[62:63]
	v_fma_f64 v[6:7], v[6:7], v[40:41], v[68:69]
	v_fma_f64 v[12:13], v[12:13], v[44:45], -v[70:71]
	v_fma_f64 v[14:15], v[14:15], v[44:45], v[46:47]
	v_fma_f64 v[22:23], v[22:23], v[48:49], v[72:73]
	v_fma_f64 v[0:1], v[0:1], v[52:53], -v[74:75]
	v_fma_f64 v[28:29], v[28:29], v[56:57], -v[76:77]
	v_fma_f64 v[18:19], v[18:19], v[32:33], v[34:35]
	v_fma_f64 v[26:27], v[26:27], v[36:37], v[38:39]
	v_fma_f64 v[20:21], v[20:21], v[48:49], -v[50:51]
	v_fma_f64 v[4:5], v[4:5], v[40:41], -v[42:43]
	v_fma_f64 v[2:3], v[2:3], v[52:53], v[54:55]
	v_fma_f64 v[30:31], v[30:31], v[56:57], v[58:59]
	v_add_f64_e64 v[24:25], v[16:17], -v[24:25]
	v_add_f64_e64 v[6:7], v[10:11], -v[6:7]
	;; [unrolled: 1-line block ×8, first 2 shown]
	v_fma_f64 v[16:17], v[16:17], 2.0, -v[24:25]
	v_add_f64_e32 v[32:33], v[6:7], v[24:25]
	v_fma_f64 v[10:11], v[10:11], 2.0, -v[6:7]
	v_fma_f64 v[14:15], v[14:15], 2.0, -v[22:23]
	v_add_f64_e32 v[34:35], v[22:23], v[28:29]
	v_fma_f64 v[0:1], v[0:1], 2.0, -v[28:29]
	v_fma_f64 v[18:19], v[18:19], 2.0, -v[26:27]
	;; [unrolled: 1-line block ×4, first 2 shown]
	v_add_f64_e64 v[26:27], v[4:5], -v[26:27]
	v_fma_f64 v[2:3], v[2:3], 2.0, -v[30:31]
	v_add_f64_e64 v[24:25], v[20:21], -v[30:31]
	v_fma_f64 v[30:31], v[6:7], 2.0, -v[32:33]
	;; [unrolled: 2-line block ×3, first 2 shown]
	v_add_f64_e64 v[0:1], v[12:13], -v[0:1]
	v_add_f64_e64 v[16:17], v[8:9], -v[16:17]
	;; [unrolled: 1-line block ×3, first 2 shown]
	v_fma_f64 v[20:21], v[20:21], 2.0, -v[24:25]
	v_fma_f64 v[36:37], v[4:5], 2.0, -v[26:27]
	v_fma_f64 v[2:3], v[34:35], s[6:7], v[32:33]
	v_fma_f64 v[38:39], v[24:25], s[6:7], v[26:27]
	v_fma_f64 v[42:43], v[10:11], 2.0, -v[28:29]
	v_fma_f64 v[40:41], v[18:19], s[2:3], v[30:31]
	v_add_f64_e32 v[6:7], v[28:29], v[0:1]
	v_fma_f64 v[44:45], v[8:9], 2.0, -v[16:17]
	v_fma_f64 v[14:15], v[14:15], 2.0, -v[22:23]
	;; [unrolled: 1-line block ×3, first 2 shown]
	v_fma_f64 v[46:47], v[20:21], s[2:3], v[36:37]
	v_add_f64_e64 v[4:5], v[16:17], -v[22:23]
	v_fma_f64 v[2:3], v[24:25], s[6:7], v[2:3]
	v_fma_f64 v[0:1], v[34:35], s[2:3], v[38:39]
	;; [unrolled: 1-line block ×3, first 2 shown]
	v_fma_f64 v[22:23], v[28:29], 2.0, -v[6:7]
	v_add_f64_e64 v[14:15], v[42:43], -v[14:15]
	v_add_f64_e64 v[12:13], v[44:45], -v[8:9]
	v_fma_f64 v[8:9], v[18:19], s[2:3], v[46:47]
	v_fma_f64 v[20:21], v[16:17], 2.0, -v[4:5]
	v_fma_f64 v[18:19], v[32:33], 2.0, -v[2:3]
	;; [unrolled: 1-line block ×7, first 2 shown]
	ds_store_b128 v160, v[20:23] offset:6240
	ds_store_b128 v160, v[16:19] offset:8528
	;; [unrolled: 1-line block ×8, first 2 shown]
.LBB0_17:
	s_wait_alu 0xfffe
	s_or_b32 exec_lo, exec_lo, s1
	global_wb scope:SCOPE_SE
	s_wait_dscnt 0x0
	s_barrier_signal -1
	s_barrier_wait -1
	global_inv scope:SCOPE_SE
	ds_load_b128 v[0:3], v160
	v_lshlrev_b32_e32 v4, 4, v64
	s_mov_b32 s1, exec_lo
                                        ; implicit-def: $vgpr6_vgpr7
                                        ; implicit-def: $vgpr8_vgpr9
	s_delay_alu instid0(VALU_DEP_1)
	v_sub_nc_u32_e32 v10, 0, v4
                                        ; implicit-def: $vgpr4_vgpr5
	v_cmpx_ne_u32_e32 0, v64
	s_wait_alu 0xfffe
	s_xor_b32 s1, exec_lo, s1
	s_cbranch_execz .LBB0_19
; %bb.18:
	v_mov_b32_e32 v65, 0
	ds_load_b128 v[11:14], v10 offset:18304
	v_lshlrev_b64_e32 v[4:5], 4, v[64:65]
	s_delay_alu instid0(VALU_DEP_1) | instskip(SKIP_1) | instid1(VALU_DEP_2)
	v_add_co_u32 v4, s0, s4, v4
	s_wait_alu 0xf1ff
	v_add_co_ci_u32_e64 v5, s0, s5, v5, s0
	global_load_b128 v[6:9], v[4:5], off offset:18096
	s_wait_dscnt 0x0
	v_add_f64_e64 v[4:5], v[0:1], -v[11:12]
	v_add_f64_e32 v[15:16], v[2:3], v[13:14]
	v_add_f64_e64 v[2:3], v[2:3], -v[13:14]
	v_add_f64_e32 v[0:1], v[0:1], v[11:12]
	s_delay_alu instid0(VALU_DEP_4) | instskip(NEXT) | instid1(VALU_DEP_4)
	v_mul_f64_e32 v[4:5], 0.5, v[4:5]
	v_mul_f64_e32 v[13:14], 0.5, v[15:16]
	s_delay_alu instid0(VALU_DEP_4) | instskip(SKIP_1) | instid1(VALU_DEP_3)
	v_mul_f64_e32 v[2:3], 0.5, v[2:3]
	s_wait_loadcnt 0x0
	v_mul_f64_e32 v[11:12], v[4:5], v[8:9]
	s_delay_alu instid0(VALU_DEP_2) | instskip(SKIP_1) | instid1(VALU_DEP_3)
	v_fma_f64 v[15:16], v[13:14], v[8:9], v[2:3]
	v_fma_f64 v[2:3], v[13:14], v[8:9], -v[2:3]
	v_fma_f64 v[8:9], v[0:1], 0.5, v[11:12]
	v_fma_f64 v[0:1], v[0:1], 0.5, -v[11:12]
	s_delay_alu instid0(VALU_DEP_4) | instskip(NEXT) | instid1(VALU_DEP_4)
	v_fma_f64 v[11:12], -v[6:7], v[4:5], v[15:16]
	v_fma_f64 v[2:3], -v[6:7], v[4:5], v[2:3]
	ds_store_b64 v160, v[11:12] offset:8
	ds_store_b64 v10, v[2:3] offset:18312
	v_fma_f64 v[4:5], v[13:14], v[6:7], v[8:9]
	v_fma_f64 v[6:7], -v[13:14], v[6:7], v[0:1]
	v_dual_mov_b32 v8, v64 :: v_dual_mov_b32 v9, v65
                                        ; implicit-def: $vgpr0_vgpr1
.LBB0_19:
	s_wait_alu 0xfffe
	s_and_not1_saveexec_b32 s0, s1
	s_cbranch_execz .LBB0_21
; %bb.20:
	s_wait_dscnt 0x0
	v_add_f64_e32 v[4:5], v[0:1], v[2:3]
	v_add_f64_e64 v[6:7], v[0:1], -v[2:3]
	s_mov_b32 s2, 0
	v_mov_b32_e32 v2, 0
	s_wait_alu 0xfffe
	s_mov_b32 s3, s2
	s_wait_alu 0xfffe
	v_dual_mov_b32 v0, s2 :: v_dual_mov_b32 v1, s3
	v_mov_b32_e32 v8, 0
	v_mov_b32_e32 v9, 0
	ds_store_b64 v160, v[0:1] offset:8
	ds_store_b64 v10, v[0:1] offset:18312
	ds_load_b64 v[0:1], v2 offset:9160
	s_wait_dscnt 0x0
	v_xor_b32_e32 v1, 0x80000000, v1
	ds_store_b64 v2, v[0:1] offset:9160
.LBB0_21:
	s_wait_alu 0xfffe
	s_or_b32 exec_lo, exec_lo, s0
	s_wait_dscnt 0x0
	v_lshlrev_b64_e32 v[0:1], 4, v[8:9]
	s_add_nc_u64 s[0:1], s[4:5], 0x46b0
	s_wait_alu 0xfffe
	s_delay_alu instid0(VALU_DEP_1) | instskip(SKIP_1) | instid1(VALU_DEP_2)
	v_add_co_u32 v2, s0, s0, v0
	s_wait_alu 0xf1ff
	v_add_co_ci_u32_e64 v3, s0, s1, v1, s0
	s_mov_b32 s1, exec_lo
	s_clause 0x1
	global_load_b128 v[11:14], v[2:3], off offset:1664
	global_load_b128 v[15:18], v[2:3], off offset:3328
	ds_store_b64 v160, v[4:5]
	ds_store_b64 v10, v[6:7] offset:18304
	ds_load_b128 v[4:7], v160 offset:1664
	ds_load_b128 v[19:22], v10 offset:16640
	s_wait_dscnt 0x0
	v_add_f64_e64 v[8:9], v[4:5], -v[19:20]
	v_add_f64_e32 v[23:24], v[6:7], v[21:22]
	v_add_f64_e64 v[6:7], v[6:7], -v[21:22]
	v_add_f64_e32 v[4:5], v[4:5], v[19:20]
	s_delay_alu instid0(VALU_DEP_4) | instskip(NEXT) | instid1(VALU_DEP_4)
	v_mul_f64_e32 v[8:9], 0.5, v[8:9]
	v_mul_f64_e32 v[21:22], 0.5, v[23:24]
	s_delay_alu instid0(VALU_DEP_4) | instskip(SKIP_1) | instid1(VALU_DEP_3)
	v_mul_f64_e32 v[6:7], 0.5, v[6:7]
	s_wait_loadcnt 0x1
	v_mul_f64_e32 v[19:20], v[8:9], v[13:14]
	s_delay_alu instid0(VALU_DEP_2) | instskip(SKIP_1) | instid1(VALU_DEP_3)
	v_fma_f64 v[23:24], v[21:22], v[13:14], v[6:7]
	v_fma_f64 v[13:14], v[21:22], v[13:14], -v[6:7]
	v_fma_f64 v[25:26], v[4:5], 0.5, v[19:20]
	v_fma_f64 v[19:20], v[4:5], 0.5, -v[19:20]
	s_delay_alu instid0(VALU_DEP_4) | instskip(NEXT) | instid1(VALU_DEP_4)
	v_fma_f64 v[6:7], -v[11:12], v[8:9], v[23:24]
	v_fma_f64 v[13:14], -v[11:12], v[8:9], v[13:14]
	s_delay_alu instid0(VALU_DEP_4) | instskip(NEXT) | instid1(VALU_DEP_4)
	v_fma_f64 v[4:5], v[21:22], v[11:12], v[25:26]
	v_fma_f64 v[11:12], -v[21:22], v[11:12], v[19:20]
	global_load_b128 v[19:22], v[2:3], off offset:4992
	ds_store_b128 v160, v[4:7] offset:1664
	ds_store_b128 v10, v[11:14] offset:16640
	ds_load_b128 v[4:7], v160 offset:3328
	ds_load_b128 v[11:14], v10 offset:14976
	s_wait_dscnt 0x0
	v_add_f64_e64 v[8:9], v[4:5], -v[11:12]
	v_add_f64_e32 v[23:24], v[6:7], v[13:14]
	v_add_f64_e64 v[6:7], v[6:7], -v[13:14]
	v_add_f64_e32 v[4:5], v[4:5], v[11:12]
	s_delay_alu instid0(VALU_DEP_4) | instskip(NEXT) | instid1(VALU_DEP_4)
	v_mul_f64_e32 v[8:9], 0.5, v[8:9]
	v_mul_f64_e32 v[23:24], 0.5, v[23:24]
	s_delay_alu instid0(VALU_DEP_4) | instskip(SKIP_1) | instid1(VALU_DEP_3)
	v_mul_f64_e32 v[6:7], 0.5, v[6:7]
	s_wait_loadcnt 0x1
	v_mul_f64_e32 v[11:12], v[8:9], v[17:18]
	s_delay_alu instid0(VALU_DEP_2) | instskip(SKIP_1) | instid1(VALU_DEP_3)
	v_fma_f64 v[13:14], v[23:24], v[17:18], v[6:7]
	v_fma_f64 v[17:18], v[23:24], v[17:18], -v[6:7]
	v_fma_f64 v[25:26], v[4:5], 0.5, v[11:12]
	v_fma_f64 v[11:12], v[4:5], 0.5, -v[11:12]
	s_delay_alu instid0(VALU_DEP_4) | instskip(NEXT) | instid1(VALU_DEP_4)
	v_fma_f64 v[6:7], -v[15:16], v[8:9], v[13:14]
	v_fma_f64 v[13:14], -v[15:16], v[8:9], v[17:18]
	s_delay_alu instid0(VALU_DEP_4) | instskip(NEXT) | instid1(VALU_DEP_4)
	v_fma_f64 v[4:5], v[23:24], v[15:16], v[25:26]
	v_fma_f64 v[11:12], -v[23:24], v[15:16], v[11:12]
	global_load_b128 v[15:18], v[2:3], off offset:6656
	ds_store_b128 v160, v[4:7] offset:3328
	ds_store_b128 v10, v[11:14] offset:14976
	ds_load_b128 v[4:7], v160 offset:4992
	ds_load_b128 v[11:14], v10 offset:13312
	s_wait_dscnt 0x0
	v_add_f64_e64 v[8:9], v[4:5], -v[11:12]
	v_add_f64_e32 v[23:24], v[6:7], v[13:14]
	v_add_f64_e64 v[6:7], v[6:7], -v[13:14]
	v_add_f64_e32 v[4:5], v[4:5], v[11:12]
	s_delay_alu instid0(VALU_DEP_4) | instskip(NEXT) | instid1(VALU_DEP_4)
	v_mul_f64_e32 v[8:9], 0.5, v[8:9]
	v_mul_f64_e32 v[23:24], 0.5, v[23:24]
	s_delay_alu instid0(VALU_DEP_4) | instskip(SKIP_1) | instid1(VALU_DEP_3)
	v_mul_f64_e32 v[6:7], 0.5, v[6:7]
	s_wait_loadcnt 0x1
	v_mul_f64_e32 v[11:12], v[8:9], v[21:22]
	s_delay_alu instid0(VALU_DEP_2) | instskip(SKIP_1) | instid1(VALU_DEP_3)
	v_fma_f64 v[13:14], v[23:24], v[21:22], v[6:7]
	v_fma_f64 v[21:22], v[23:24], v[21:22], -v[6:7]
	v_fma_f64 v[25:26], v[4:5], 0.5, v[11:12]
	v_fma_f64 v[11:12], v[4:5], 0.5, -v[11:12]
	s_delay_alu instid0(VALU_DEP_4) | instskip(NEXT) | instid1(VALU_DEP_4)
	v_fma_f64 v[6:7], -v[19:20], v[8:9], v[13:14]
	v_fma_f64 v[13:14], -v[19:20], v[8:9], v[21:22]
	s_delay_alu instid0(VALU_DEP_4) | instskip(NEXT) | instid1(VALU_DEP_4)
	v_fma_f64 v[4:5], v[23:24], v[19:20], v[25:26]
	v_fma_f64 v[11:12], -v[23:24], v[19:20], v[11:12]
	ds_store_b128 v160, v[4:7] offset:4992
	ds_store_b128 v10, v[11:14] offset:13312
	ds_load_b128 v[4:7], v160 offset:6656
	ds_load_b128 v[11:14], v10 offset:11648
	s_wait_dscnt 0x0
	v_add_f64_e64 v[8:9], v[4:5], -v[11:12]
	v_add_f64_e32 v[19:20], v[6:7], v[13:14]
	v_add_f64_e64 v[6:7], v[6:7], -v[13:14]
	v_add_f64_e32 v[4:5], v[4:5], v[11:12]
	s_delay_alu instid0(VALU_DEP_4) | instskip(NEXT) | instid1(VALU_DEP_4)
	v_mul_f64_e32 v[8:9], 0.5, v[8:9]
	v_mul_f64_e32 v[19:20], 0.5, v[19:20]
	s_delay_alu instid0(VALU_DEP_4) | instskip(SKIP_1) | instid1(VALU_DEP_3)
	v_mul_f64_e32 v[6:7], 0.5, v[6:7]
	s_wait_loadcnt 0x0
	v_mul_f64_e32 v[11:12], v[8:9], v[17:18]
	s_delay_alu instid0(VALU_DEP_2) | instskip(SKIP_1) | instid1(VALU_DEP_3)
	v_fma_f64 v[13:14], v[19:20], v[17:18], v[6:7]
	v_fma_f64 v[17:18], v[19:20], v[17:18], -v[6:7]
	v_fma_f64 v[21:22], v[4:5], 0.5, v[11:12]
	v_fma_f64 v[11:12], v[4:5], 0.5, -v[11:12]
	s_delay_alu instid0(VALU_DEP_4) | instskip(NEXT) | instid1(VALU_DEP_4)
	v_fma_f64 v[6:7], -v[15:16], v[8:9], v[13:14]
	v_fma_f64 v[13:14], -v[15:16], v[8:9], v[17:18]
	s_delay_alu instid0(VALU_DEP_4) | instskip(NEXT) | instid1(VALU_DEP_4)
	v_fma_f64 v[4:5], v[19:20], v[15:16], v[21:22]
	v_fma_f64 v[11:12], -v[19:20], v[15:16], v[11:12]
	ds_store_b128 v160, v[4:7] offset:6656
	ds_store_b128 v10, v[11:14] offset:11648
	v_cmpx_gt_u32_e32 52, v64
	s_cbranch_execz .LBB0_23
; %bb.22:
	global_load_b128 v[2:5], v[2:3], off offset:8320
	ds_load_b128 v[6:9], v160 offset:8320
	ds_load_b128 v[11:14], v10 offset:9984
	s_wait_dscnt 0x0
	v_add_f64_e64 v[15:16], v[6:7], -v[11:12]
	v_add_f64_e32 v[17:18], v[8:9], v[13:14]
	v_add_f64_e64 v[8:9], v[8:9], -v[13:14]
	v_add_f64_e32 v[6:7], v[6:7], v[11:12]
	s_delay_alu instid0(VALU_DEP_4) | instskip(NEXT) | instid1(VALU_DEP_4)
	v_mul_f64_e32 v[13:14], 0.5, v[15:16]
	v_mul_f64_e32 v[15:16], 0.5, v[17:18]
	s_delay_alu instid0(VALU_DEP_4) | instskip(SKIP_1) | instid1(VALU_DEP_3)
	v_mul_f64_e32 v[8:9], 0.5, v[8:9]
	s_wait_loadcnt 0x0
	v_mul_f64_e32 v[11:12], v[13:14], v[4:5]
	s_delay_alu instid0(VALU_DEP_2) | instskip(SKIP_1) | instid1(VALU_DEP_3)
	v_fma_f64 v[17:18], v[15:16], v[4:5], v[8:9]
	v_fma_f64 v[4:5], v[15:16], v[4:5], -v[8:9]
	v_fma_f64 v[8:9], v[6:7], 0.5, v[11:12]
	v_fma_f64 v[11:12], v[6:7], 0.5, -v[11:12]
	s_delay_alu instid0(VALU_DEP_4) | instskip(NEXT) | instid1(VALU_DEP_4)
	v_fma_f64 v[6:7], -v[2:3], v[13:14], v[17:18]
	v_fma_f64 v[13:14], -v[2:3], v[13:14], v[4:5]
	s_delay_alu instid0(VALU_DEP_4) | instskip(NEXT) | instid1(VALU_DEP_4)
	v_fma_f64 v[4:5], v[15:16], v[2:3], v[8:9]
	v_fma_f64 v[11:12], -v[15:16], v[2:3], v[11:12]
	ds_store_b128 v160, v[4:7] offset:8320
	ds_store_b128 v10, v[11:14] offset:9984
.LBB0_23:
	s_wait_alu 0xfffe
	s_or_b32 exec_lo, exec_lo, s1
	global_wb scope:SCOPE_SE
	s_wait_dscnt 0x0
	s_barrier_signal -1
	s_barrier_wait -1
	global_inv scope:SCOPE_SE
	s_and_saveexec_b32 s0, vcc_lo
	s_cbranch_execz .LBB0_26
; %bb.24:
	ds_load_b128 v[4:7], v160
	ds_load_b128 v[8:11], v160 offset:1664
	ds_load_b128 v[12:15], v160 offset:3328
	;; [unrolled: 1-line block ×10, first 2 shown]
	v_add_co_u32 v2, vcc_lo, s8, v66
	s_wait_alu 0xfffd
	v_add_co_ci_u32_e32 v3, vcc_lo, s9, v67, vcc_lo
	s_delay_alu instid0(VALU_DEP_2) | instskip(SKIP_1) | instid1(VALU_DEP_2)
	v_add_co_u32 v0, vcc_lo, v2, v0
	s_wait_alu 0xfffd
	v_add_co_ci_u32_e32 v1, vcc_lo, v3, v1, vcc_lo
	v_cmp_eq_u32_e32 vcc_lo, 0x67, v64
	s_wait_dscnt 0xa
	global_store_b128 v[0:1], v[4:7], off
	s_wait_dscnt 0x9
	global_store_b128 v[0:1], v[8:11], off offset:1664
	s_wait_dscnt 0x8
	global_store_b128 v[0:1], v[12:15], off offset:3328
	;; [unrolled: 2-line block ×10, first 2 shown]
	s_and_b32 exec_lo, exec_lo, vcc_lo
	s_cbranch_execz .LBB0_26
; %bb.25:
	v_mov_b32_e32 v0, 0
	ds_load_b128 v[4:7], v0 offset:18304
	s_wait_dscnt 0x0
	global_store_b128 v[2:3], v[4:7], off offset:18304
.LBB0_26:
	s_nop 0
	s_sendmsg sendmsg(MSG_DEALLOC_VGPRS)
	s_endpgm
	.section	.rodata,"a",@progbits
	.p2align	6, 0x0
	.amdhsa_kernel fft_rtc_fwd_len1144_factors_13_11_8_wgs_104_tpt_104_dp_ip_CI_unitstride_sbrr_R2C_dirReg
		.amdhsa_group_segment_fixed_size 0
		.amdhsa_private_segment_fixed_size 0
		.amdhsa_kernarg_size 88
		.amdhsa_user_sgpr_count 2
		.amdhsa_user_sgpr_dispatch_ptr 0
		.amdhsa_user_sgpr_queue_ptr 0
		.amdhsa_user_sgpr_kernarg_segment_ptr 1
		.amdhsa_user_sgpr_dispatch_id 0
		.amdhsa_user_sgpr_private_segment_size 0
		.amdhsa_wavefront_size32 1
		.amdhsa_uses_dynamic_stack 0
		.amdhsa_enable_private_segment 0
		.amdhsa_system_sgpr_workgroup_id_x 1
		.amdhsa_system_sgpr_workgroup_id_y 0
		.amdhsa_system_sgpr_workgroup_id_z 0
		.amdhsa_system_sgpr_workgroup_info 0
		.amdhsa_system_vgpr_workitem_id 0
		.amdhsa_next_free_vgpr 237
		.amdhsa_next_free_sgpr 42
		.amdhsa_reserve_vcc 1
		.amdhsa_float_round_mode_32 0
		.amdhsa_float_round_mode_16_64 0
		.amdhsa_float_denorm_mode_32 3
		.amdhsa_float_denorm_mode_16_64 3
		.amdhsa_fp16_overflow 0
		.amdhsa_workgroup_processor_mode 1
		.amdhsa_memory_ordered 1
		.amdhsa_forward_progress 0
		.amdhsa_round_robin_scheduling 0
		.amdhsa_exception_fp_ieee_invalid_op 0
		.amdhsa_exception_fp_denorm_src 0
		.amdhsa_exception_fp_ieee_div_zero 0
		.amdhsa_exception_fp_ieee_overflow 0
		.amdhsa_exception_fp_ieee_underflow 0
		.amdhsa_exception_fp_ieee_inexact 0
		.amdhsa_exception_int_div_zero 0
	.end_amdhsa_kernel
	.text
.Lfunc_end0:
	.size	fft_rtc_fwd_len1144_factors_13_11_8_wgs_104_tpt_104_dp_ip_CI_unitstride_sbrr_R2C_dirReg, .Lfunc_end0-fft_rtc_fwd_len1144_factors_13_11_8_wgs_104_tpt_104_dp_ip_CI_unitstride_sbrr_R2C_dirReg
                                        ; -- End function
	.section	.AMDGPU.csdata,"",@progbits
; Kernel info:
; codeLenInByte = 10692
; NumSgprs: 44
; NumVgprs: 237
; ScratchSize: 0
; MemoryBound: 0
; FloatMode: 240
; IeeeMode: 1
; LDSByteSize: 0 bytes/workgroup (compile time only)
; SGPRBlocks: 5
; VGPRBlocks: 29
; NumSGPRsForWavesPerEU: 44
; NumVGPRsForWavesPerEU: 237
; Occupancy: 6
; WaveLimiterHint : 1
; COMPUTE_PGM_RSRC2:SCRATCH_EN: 0
; COMPUTE_PGM_RSRC2:USER_SGPR: 2
; COMPUTE_PGM_RSRC2:TRAP_HANDLER: 0
; COMPUTE_PGM_RSRC2:TGID_X_EN: 1
; COMPUTE_PGM_RSRC2:TGID_Y_EN: 0
; COMPUTE_PGM_RSRC2:TGID_Z_EN: 0
; COMPUTE_PGM_RSRC2:TIDIG_COMP_CNT: 0
	.text
	.p2alignl 7, 3214868480
	.fill 96, 4, 3214868480
	.type	__hip_cuid_f5732dc91d942df2,@object ; @__hip_cuid_f5732dc91d942df2
	.section	.bss,"aw",@nobits
	.globl	__hip_cuid_f5732dc91d942df2
__hip_cuid_f5732dc91d942df2:
	.byte	0                               ; 0x0
	.size	__hip_cuid_f5732dc91d942df2, 1

	.ident	"AMD clang version 19.0.0git (https://github.com/RadeonOpenCompute/llvm-project roc-6.4.0 25133 c7fe45cf4b819c5991fe208aaa96edf142730f1d)"
	.section	".note.GNU-stack","",@progbits
	.addrsig
	.addrsig_sym __hip_cuid_f5732dc91d942df2
	.amdgpu_metadata
---
amdhsa.kernels:
  - .args:
      - .actual_access:  read_only
        .address_space:  global
        .offset:         0
        .size:           8
        .value_kind:     global_buffer
      - .offset:         8
        .size:           8
        .value_kind:     by_value
      - .actual_access:  read_only
        .address_space:  global
        .offset:         16
        .size:           8
        .value_kind:     global_buffer
      - .actual_access:  read_only
        .address_space:  global
        .offset:         24
        .size:           8
        .value_kind:     global_buffer
      - .offset:         32
        .size:           8
        .value_kind:     by_value
      - .actual_access:  read_only
        .address_space:  global
        .offset:         40
        .size:           8
        .value_kind:     global_buffer
      - .actual_access:  read_only
        .address_space:  global
        .offset:         48
        .size:           8
        .value_kind:     global_buffer
      - .offset:         56
        .size:           4
        .value_kind:     by_value
      - .actual_access:  read_only
        .address_space:  global
        .offset:         64
        .size:           8
        .value_kind:     global_buffer
      - .actual_access:  read_only
        .address_space:  global
        .offset:         72
        .size:           8
        .value_kind:     global_buffer
      - .address_space:  global
        .offset:         80
        .size:           8
        .value_kind:     global_buffer
    .group_segment_fixed_size: 0
    .kernarg_segment_align: 8
    .kernarg_segment_size: 88
    .language:       OpenCL C
    .language_version:
      - 2
      - 0
    .max_flat_workgroup_size: 104
    .name:           fft_rtc_fwd_len1144_factors_13_11_8_wgs_104_tpt_104_dp_ip_CI_unitstride_sbrr_R2C_dirReg
    .private_segment_fixed_size: 0
    .sgpr_count:     44
    .sgpr_spill_count: 0
    .symbol:         fft_rtc_fwd_len1144_factors_13_11_8_wgs_104_tpt_104_dp_ip_CI_unitstride_sbrr_R2C_dirReg.kd
    .uniform_work_group_size: 1
    .uses_dynamic_stack: false
    .vgpr_count:     237
    .vgpr_spill_count: 0
    .wavefront_size: 32
    .workgroup_processor_mode: 1
amdhsa.target:   amdgcn-amd-amdhsa--gfx1201
amdhsa.version:
  - 1
  - 2
...

	.end_amdgpu_metadata
